;; amdgpu-corpus repo=ROCm/rocFFT kind=compiled arch=gfx1030 opt=O3
	.text
	.amdgcn_target "amdgcn-amd-amdhsa--gfx1030"
	.amdhsa_code_object_version 6
	.protected	fft_rtc_back_len1183_factors_7_13_13_wgs_182_tpt_91_halfLds_dp_op_CI_CI_sbrr_dirReg ; -- Begin function fft_rtc_back_len1183_factors_7_13_13_wgs_182_tpt_91_halfLds_dp_op_CI_CI_sbrr_dirReg
	.globl	fft_rtc_back_len1183_factors_7_13_13_wgs_182_tpt_91_halfLds_dp_op_CI_CI_sbrr_dirReg
	.p2align	8
	.type	fft_rtc_back_len1183_factors_7_13_13_wgs_182_tpt_91_halfLds_dp_op_CI_CI_sbrr_dirReg,@function
fft_rtc_back_len1183_factors_7_13_13_wgs_182_tpt_91_halfLds_dp_op_CI_CI_sbrr_dirReg: ; @fft_rtc_back_len1183_factors_7_13_13_wgs_182_tpt_91_halfLds_dp_op_CI_CI_sbrr_dirReg
; %bb.0:
	s_clause 0x2
	s_load_dwordx4 s[16:19], s[4:5], 0x18
	s_load_dwordx4 s[12:15], s[4:5], 0x0
	;; [unrolled: 1-line block ×3, first 2 shown]
	v_mul_u32_u24_e32 v1, 0x2d1, v0
	v_mov_b32_e32 v4, 0
	v_mov_b32_e32 v5, 0
	s_waitcnt lgkmcnt(0)
	s_load_dwordx2 s[20:21], s[16:17], 0x0
	s_load_dwordx2 s[2:3], s[18:19], 0x0
	v_lshrrev_b32_e32 v60, 16, v1
	v_mov_b32_e32 v1, 0
	v_cmp_lt_u64_e64 s0, s[14:15], 2
	v_lshl_add_u32 v6, s6, 1, v60
	v_mov_b32_e32 v7, v1
	s_and_b32 vcc_lo, exec_lo, s0
	s_cbranch_vccnz .LBB0_8
; %bb.1:
	s_load_dwordx2 s[0:1], s[4:5], 0x10
	v_mov_b32_e32 v4, 0
	v_mov_b32_e32 v5, 0
	s_add_u32 s6, s18, 8
	s_addc_u32 s7, s19, 0
	s_add_u32 s22, s16, 8
	s_addc_u32 s23, s17, 0
	v_mov_b32_e32 v57, v5
	v_mov_b32_e32 v56, v4
	s_mov_b64 s[26:27], 1
	s_waitcnt lgkmcnt(0)
	s_add_u32 s24, s0, 8
	s_addc_u32 s25, s1, 0
.LBB0_2:                                ; =>This Inner Loop Header: Depth=1
	s_load_dwordx2 s[28:29], s[24:25], 0x0
                                        ; implicit-def: $vgpr58_vgpr59
	s_mov_b32 s0, exec_lo
	s_waitcnt lgkmcnt(0)
	v_or_b32_e32 v2, s29, v7
	v_cmpx_ne_u64_e32 0, v[1:2]
	s_xor_b32 s1, exec_lo, s0
	s_cbranch_execz .LBB0_4
; %bb.3:                                ;   in Loop: Header=BB0_2 Depth=1
	v_cvt_f32_u32_e32 v2, s28
	v_cvt_f32_u32_e32 v3, s29
	s_sub_u32 s0, 0, s28
	s_subb_u32 s30, 0, s29
	v_fmac_f32_e32 v2, 0x4f800000, v3
	v_rcp_f32_e32 v2, v2
	v_mul_f32_e32 v2, 0x5f7ffffc, v2
	v_mul_f32_e32 v3, 0x2f800000, v2
	v_trunc_f32_e32 v3, v3
	v_fmac_f32_e32 v2, 0xcf800000, v3
	v_cvt_u32_f32_e32 v3, v3
	v_cvt_u32_f32_e32 v2, v2
	v_mul_lo_u32 v8, s0, v3
	v_mul_hi_u32 v9, s0, v2
	v_mul_lo_u32 v10, s30, v2
	v_add_nc_u32_e32 v8, v9, v8
	v_mul_lo_u32 v9, s0, v2
	v_add_nc_u32_e32 v8, v8, v10
	v_mul_hi_u32 v10, v2, v9
	v_mul_lo_u32 v11, v2, v8
	v_mul_hi_u32 v12, v2, v8
	v_mul_hi_u32 v13, v3, v9
	v_mul_lo_u32 v9, v3, v9
	v_mul_hi_u32 v14, v3, v8
	v_mul_lo_u32 v8, v3, v8
	v_add_co_u32 v10, vcc_lo, v10, v11
	v_add_co_ci_u32_e32 v11, vcc_lo, 0, v12, vcc_lo
	v_add_co_u32 v9, vcc_lo, v10, v9
	v_add_co_ci_u32_e32 v9, vcc_lo, v11, v13, vcc_lo
	v_add_co_ci_u32_e32 v10, vcc_lo, 0, v14, vcc_lo
	v_add_co_u32 v8, vcc_lo, v9, v8
	v_add_co_ci_u32_e32 v9, vcc_lo, 0, v10, vcc_lo
	v_add_co_u32 v2, vcc_lo, v2, v8
	v_add_co_ci_u32_e32 v3, vcc_lo, v3, v9, vcc_lo
	v_mul_hi_u32 v8, s0, v2
	v_mul_lo_u32 v10, s30, v2
	v_mul_lo_u32 v9, s0, v3
	v_add_nc_u32_e32 v8, v8, v9
	v_mul_lo_u32 v9, s0, v2
	v_add_nc_u32_e32 v8, v8, v10
	v_mul_hi_u32 v10, v2, v9
	v_mul_lo_u32 v11, v2, v8
	v_mul_hi_u32 v12, v2, v8
	v_mul_hi_u32 v13, v3, v9
	v_mul_lo_u32 v9, v3, v9
	v_mul_hi_u32 v14, v3, v8
	v_mul_lo_u32 v8, v3, v8
	v_add_co_u32 v10, vcc_lo, v10, v11
	v_add_co_ci_u32_e32 v11, vcc_lo, 0, v12, vcc_lo
	v_add_co_u32 v9, vcc_lo, v10, v9
	v_add_co_ci_u32_e32 v9, vcc_lo, v11, v13, vcc_lo
	v_add_co_ci_u32_e32 v10, vcc_lo, 0, v14, vcc_lo
	v_add_co_u32 v8, vcc_lo, v9, v8
	v_add_co_ci_u32_e32 v9, vcc_lo, 0, v10, vcc_lo
	v_add_co_u32 v8, vcc_lo, v2, v8
	v_add_co_ci_u32_e32 v10, vcc_lo, v3, v9, vcc_lo
	v_mul_hi_u32 v12, v6, v8
	v_mad_u64_u32 v[8:9], null, v7, v8, 0
	v_mad_u64_u32 v[2:3], null, v6, v10, 0
	;; [unrolled: 1-line block ×3, first 2 shown]
	v_add_co_u32 v2, vcc_lo, v12, v2
	v_add_co_ci_u32_e32 v3, vcc_lo, 0, v3, vcc_lo
	v_add_co_u32 v2, vcc_lo, v2, v8
	v_add_co_ci_u32_e32 v2, vcc_lo, v3, v9, vcc_lo
	v_add_co_ci_u32_e32 v3, vcc_lo, 0, v11, vcc_lo
	v_add_co_u32 v8, vcc_lo, v2, v10
	v_add_co_ci_u32_e32 v9, vcc_lo, 0, v3, vcc_lo
	v_mul_lo_u32 v10, s29, v8
	v_mad_u64_u32 v[2:3], null, s28, v8, 0
	v_mul_lo_u32 v11, s28, v9
	v_sub_co_u32 v2, vcc_lo, v6, v2
	v_add3_u32 v3, v3, v11, v10
	v_sub_nc_u32_e32 v10, v7, v3
	v_subrev_co_ci_u32_e64 v10, s0, s29, v10, vcc_lo
	v_add_co_u32 v11, s0, v8, 2
	v_add_co_ci_u32_e64 v12, s0, 0, v9, s0
	v_sub_co_u32 v13, s0, v2, s28
	v_sub_co_ci_u32_e32 v3, vcc_lo, v7, v3, vcc_lo
	v_subrev_co_ci_u32_e64 v10, s0, 0, v10, s0
	v_cmp_le_u32_e32 vcc_lo, s28, v13
	v_cmp_eq_u32_e64 s0, s29, v3
	v_cndmask_b32_e64 v13, 0, -1, vcc_lo
	v_cmp_le_u32_e32 vcc_lo, s29, v10
	v_cndmask_b32_e64 v14, 0, -1, vcc_lo
	v_cmp_le_u32_e32 vcc_lo, s28, v2
	v_cndmask_b32_e64 v2, 0, -1, vcc_lo
	v_cmp_le_u32_e32 vcc_lo, s29, v3
	v_cndmask_b32_e64 v15, 0, -1, vcc_lo
	v_cmp_eq_u32_e32 vcc_lo, s29, v10
	v_cndmask_b32_e64 v2, v15, v2, s0
	v_cndmask_b32_e32 v10, v14, v13, vcc_lo
	v_add_co_u32 v13, vcc_lo, v8, 1
	v_add_co_ci_u32_e32 v14, vcc_lo, 0, v9, vcc_lo
	v_cmp_ne_u32_e32 vcc_lo, 0, v10
	v_cndmask_b32_e32 v3, v14, v12, vcc_lo
	v_cndmask_b32_e32 v10, v13, v11, vcc_lo
	v_cmp_ne_u32_e32 vcc_lo, 0, v2
	v_cndmask_b32_e32 v59, v9, v3, vcc_lo
	v_cndmask_b32_e32 v58, v8, v10, vcc_lo
.LBB0_4:                                ;   in Loop: Header=BB0_2 Depth=1
	s_andn2_saveexec_b32 s0, s1
	s_cbranch_execz .LBB0_6
; %bb.5:                                ;   in Loop: Header=BB0_2 Depth=1
	v_cvt_f32_u32_e32 v2, s28
	s_sub_i32 s1, 0, s28
	v_mov_b32_e32 v59, v1
	v_rcp_iflag_f32_e32 v2, v2
	v_mul_f32_e32 v2, 0x4f7ffffe, v2
	v_cvt_u32_f32_e32 v2, v2
	v_mul_lo_u32 v3, s1, v2
	v_mul_hi_u32 v3, v2, v3
	v_add_nc_u32_e32 v2, v2, v3
	v_mul_hi_u32 v2, v6, v2
	v_mul_lo_u32 v3, v2, s28
	v_add_nc_u32_e32 v8, 1, v2
	v_sub_nc_u32_e32 v3, v6, v3
	v_subrev_nc_u32_e32 v9, s28, v3
	v_cmp_le_u32_e32 vcc_lo, s28, v3
	v_cndmask_b32_e32 v3, v3, v9, vcc_lo
	v_cndmask_b32_e32 v2, v2, v8, vcc_lo
	v_cmp_le_u32_e32 vcc_lo, s28, v3
	v_add_nc_u32_e32 v8, 1, v2
	v_cndmask_b32_e32 v58, v2, v8, vcc_lo
.LBB0_6:                                ;   in Loop: Header=BB0_2 Depth=1
	s_or_b32 exec_lo, exec_lo, s0
	v_mul_lo_u32 v8, v59, s28
	v_mul_lo_u32 v9, v58, s29
	s_load_dwordx2 s[0:1], s[22:23], 0x0
	v_mad_u64_u32 v[2:3], null, v58, s28, 0
	s_load_dwordx2 s[28:29], s[6:7], 0x0
	s_add_u32 s26, s26, 1
	s_addc_u32 s27, s27, 0
	s_add_u32 s6, s6, 8
	s_addc_u32 s7, s7, 0
	s_add_u32 s22, s22, 8
	v_add3_u32 v3, v3, v9, v8
	v_sub_co_u32 v2, vcc_lo, v6, v2
	s_addc_u32 s23, s23, 0
	s_add_u32 s24, s24, 8
	v_sub_co_ci_u32_e32 v3, vcc_lo, v7, v3, vcc_lo
	s_addc_u32 s25, s25, 0
	s_waitcnt lgkmcnt(0)
	v_mul_lo_u32 v6, s0, v3
	v_mul_lo_u32 v7, s1, v2
	v_mad_u64_u32 v[4:5], null, s0, v2, v[4:5]
	v_mul_lo_u32 v3, s28, v3
	v_mul_lo_u32 v8, s29, v2
	v_mad_u64_u32 v[56:57], null, s28, v2, v[56:57]
	v_cmp_ge_u64_e64 s0, s[26:27], s[14:15]
	v_add3_u32 v5, v7, v5, v6
	v_add3_u32 v57, v8, v57, v3
	s_and_b32 vcc_lo, exec_lo, s0
	s_cbranch_vccnz .LBB0_9
; %bb.7:                                ;   in Loop: Header=BB0_2 Depth=1
	v_mov_b32_e32 v6, v58
	v_mov_b32_e32 v7, v59
	s_branch .LBB0_2
.LBB0_8:
	v_mov_b32_e32 v57, v5
	v_mov_b32_e32 v59, v7
	;; [unrolled: 1-line block ×4, first 2 shown]
.LBB0_9:
	s_load_dwordx2 s[0:1], s[4:5], 0x28
	v_mul_hi_u32 v1, 0x2d02d03, v0
	s_lshl_b64 s[6:7], s[14:15], 3
                                        ; implicit-def: $sgpr14
                                        ; implicit-def: $vgpr110
	s_add_u32 s4, s18, s6
	s_addc_u32 s5, s19, s7
	s_waitcnt lgkmcnt(0)
	v_cmp_gt_u64_e32 vcc_lo, s[0:1], v[58:59]
	v_cmp_le_u64_e64 s0, s[0:1], v[58:59]
	s_and_saveexec_b32 s1, s0
	s_xor_b32 s0, exec_lo, s1
; %bb.10:
	v_mul_u32_u24_e32 v1, 0x5b, v1
	s_mov_b32 s14, 0
                                        ; implicit-def: $vgpr4_vgpr5
	v_sub_nc_u32_e32 v110, v0, v1
                                        ; implicit-def: $vgpr1
                                        ; implicit-def: $vgpr0
; %bb.11:
	s_or_saveexec_b32 s1, s0
	s_load_dwordx2 s[4:5], s[4:5], 0x0
	v_mov_b32_e32 v108, s14
                                        ; implicit-def: $vgpr54_vgpr55
                                        ; implicit-def: $vgpr50_vgpr51
                                        ; implicit-def: $vgpr46_vgpr47
                                        ; implicit-def: $vgpr42_vgpr43
                                        ; implicit-def: $vgpr38_vgpr39
                                        ; implicit-def: $vgpr34_vgpr35
                                        ; implicit-def: $vgpr10_vgpr11
                                        ; implicit-def: $vgpr22_vgpr23
                                        ; implicit-def: $vgpr30_vgpr31
                                        ; implicit-def: $vgpr18_vgpr19
                                        ; implicit-def: $vgpr14_vgpr15
                                        ; implicit-def: $vgpr26_vgpr27
                                        ; implicit-def: $vgpr6_vgpr7
                                        ; implicit-def: $vgpr2_vgpr3
	s_xor_b32 exec_lo, exec_lo, s1
	s_cbranch_execz .LBB0_15
; %bb.12:
	s_add_u32 s6, s16, s6
	s_addc_u32 s7, s17, s7
	v_mul_u32_u24_e32 v1, 0x5b, v1
	s_load_dwordx2 s[6:7], s[6:7], 0x0
	v_lshlrev_b64 v[2:3], 4, v[4:5]
                                        ; implicit-def: $vgpr32_vgpr33
                                        ; implicit-def: $vgpr36_vgpr37
                                        ; implicit-def: $vgpr40_vgpr41
                                        ; implicit-def: $vgpr44_vgpr45
                                        ; implicit-def: $vgpr48_vgpr49
                                        ; implicit-def: $vgpr52_vgpr53
	v_sub_nc_u32_e32 v110, v0, v1
	v_add_nc_u32_e32 v15, 0xa9, v110
	v_add_nc_u32_e32 v17, 0x152, v110
	v_mad_u64_u32 v[0:1], null, s20, v110, 0
	v_add_nc_u32_e32 v18, 0x1fb, v110
	v_mad_u64_u32 v[6:7], null, s20, v15, 0
	v_mad_u64_u32 v[8:9], null, s20, v17, 0
	v_add_nc_u32_e32 v19, 0x2a4, v110
	v_mad_u64_u32 v[10:11], null, s21, v110, v[1:2]
	s_waitcnt lgkmcnt(0)
	v_mul_lo_u32 v13, s7, v58
	v_mul_lo_u32 v14, s6, v59
	v_mad_u64_u32 v[4:5], null, s6, v58, 0
	v_mad_u64_u32 v[15:16], null, s21, v15, v[7:8]
	v_mov_b32_e32 v1, v10
	v_mad_u64_u32 v[11:12], null, s20, v18, 0
	v_add_nc_u32_e32 v21, 0x34d, v110
	v_add3_u32 v5, v5, v14, v13
	v_lshlrev_b64 v[0:1], 4, v[0:1]
	v_mov_b32_e32 v7, v15
	v_mad_u64_u32 v[13:14], null, s20, v19, 0
	v_lshlrev_b64 v[4:5], 4, v[4:5]
	v_mad_u64_u32 v[9:10], null, s21, v17, v[9:10]
	v_mad_u64_u32 v[15:16], null, s20, v21, 0
	v_add_nc_u32_e32 v22, 0x3f6, v110
	v_add_co_u32 v4, s0, s8, v4
	v_add_co_ci_u32_e64 v5, s0, s9, v5, s0
	v_lshlrev_b64 v[8:9], 4, v[8:9]
	v_add_co_u32 v38, s0, v4, v2
	v_add_co_ci_u32_e64 v39, s0, v5, v3, s0
	v_lshlrev_b64 v[2:3], 4, v[6:7]
	v_add_co_u32 v0, s0, v38, v0
	v_add_co_ci_u32_e64 v1, s0, v39, v1, s0
	v_mov_b32_e32 v10, v16
	v_add_co_u32 v4, s0, v38, v2
	v_add_co_ci_u32_e64 v5, s0, v39, v3, s0
	v_mov_b32_e32 v2, v12
	v_mov_b32_e32 v3, v14
	v_add_co_u32 v8, s0, v38, v8
	v_add_co_ci_u32_e64 v9, s0, v39, v9, s0
	v_mad_u64_u32 v[17:18], null, s21, v18, v[2:3]
	v_mad_u64_u32 v[18:19], null, s21, v19, v[3:4]
	v_mad_u64_u32 v[19:20], null, s20, v22, 0
	s_clause 0x1
	global_load_dwordx4 v[0:3], v[0:1], off
	global_load_dwordx4 v[4:7], v[4:5], off
	s_mov_b32 s6, exec_lo
	v_mov_b32_e32 v12, v17
	v_mad_u64_u32 v[16:17], null, s21, v21, v[10:11]
	v_mov_b32_e32 v14, v18
	v_mov_b32_e32 v10, v20
	v_lshlrev_b64 v[11:12], 4, v[11:12]
	v_lshlrev_b64 v[13:14], 4, v[13:14]
	;; [unrolled: 1-line block ×3, first 2 shown]
	v_mad_u64_u32 v[17:18], null, s21, v22, v[10:11]
	v_add_co_u32 v10, s0, v38, v11
	v_add_co_ci_u32_e64 v11, s0, v39, v12, s0
	v_mov_b32_e32 v20, v17
	v_add_co_u32 v17, s0, v38, v13
	v_add_co_ci_u32_e64 v18, s0, v39, v14, s0
	v_lshlrev_b64 v[12:13], 4, v[19:20]
	v_add_co_u32 v20, s0, v38, v15
	v_add_co_ci_u32_e64 v21, s0, v39, v16, s0
	v_add_co_u32 v22, s0, v38, v12
	v_add_co_ci_u32_e64 v23, s0, v39, v13, s0
	s_clause 0x4
	global_load_dwordx4 v[24:27], v[8:9], off
	global_load_dwordx4 v[12:15], v[10:11], off
	;; [unrolled: 1-line block ×5, first 2 shown]
                                        ; implicit-def: $vgpr8_vgpr9
	v_cmpx_gt_u32_e32 0x4e, v110
	s_cbranch_execz .LBB0_14
; %bb.13:
	v_add_nc_u32_e32 v32, 0x5b, v110
	v_add_nc_u32_e32 v34, 0x104, v110
	;; [unrolled: 1-line block ×5, first 2 shown]
	v_mad_u64_u32 v[8:9], null, s20, v32, 0
	v_mad_u64_u32 v[10:11], null, s20, v34, 0
	;; [unrolled: 1-line block ×6, first 2 shown]
	v_mov_b32_e32 v9, v37
	s_waitcnt vmcnt(3)
	v_mad_u64_u32 v[33:34], null, s21, v34, v[11:12]
	v_add_nc_u32_e32 v50, 0x3a8, v110
	v_add_nc_u32_e32 v51, 0x451, v110
	v_mad_u64_u32 v[34:35], null, s21, v35, v[9:10]
	v_mov_b32_e32 v9, v32
	v_mad_u64_u32 v[44:45], null, s20, v50, 0
	v_mov_b32_e32 v11, v33
	v_lshlrev_b64 v[8:9], 4, v[8:9]
	v_mov_b32_e32 v37, v34
	v_lshlrev_b64 v[10:11], 4, v[10:11]
	v_add_co_u32 v8, s0, v38, v8
	v_add_co_ci_u32_e64 v9, s0, v39, v9, s0
	v_add_co_u32 v32, s0, v38, v10
	v_add_co_ci_u32_e64 v33, s0, v39, v11, s0
	v_mov_b32_e32 v10, v41
	v_mov_b32_e32 v11, v43
	v_lshlrev_b64 v[36:37], 4, v[36:37]
	v_mad_u64_u32 v[46:47], null, s21, v46, v[10:11]
	v_mad_u64_u32 v[47:48], null, s21, v48, v[11:12]
	;; [unrolled: 1-line block ×3, first 2 shown]
	v_add_co_u32 v36, s0, v38, v36
	v_mov_b32_e32 v41, v46
	v_mad_u64_u32 v[45:46], null, s21, v50, v[45:46]
	v_mov_b32_e32 v43, v47
	v_mov_b32_e32 v46, v49
	v_lshlrev_b64 v[40:41], 4, v[40:41]
	v_add_co_ci_u32_e64 v37, s0, v39, v37, s0
	v_lshlrev_b64 v[42:43], 4, v[42:43]
	v_mad_u64_u32 v[46:47], null, s21, v51, v[46:47]
	v_add_co_u32 v40, s0, v38, v40
	v_add_co_ci_u32_e64 v41, s0, v39, v41, s0
	v_lshlrev_b64 v[44:45], 4, v[44:45]
	s_clause 0x1
	global_load_dwordx4 v[8:11], v[8:9], off
	global_load_dwordx4 v[32:35], v[32:33], off
	v_mov_b32_e32 v49, v46
	v_add_co_u32 v46, s0, v38, v42
	v_add_co_ci_u32_e64 v47, s0, v39, v43, s0
	v_lshlrev_b64 v[42:43], 4, v[48:49]
	v_add_co_u32 v48, s0, v38, v44
	v_add_co_ci_u32_e64 v49, s0, v39, v45, s0
	v_add_co_u32 v52, s0, v38, v42
	v_add_co_ci_u32_e64 v53, s0, v39, v43, s0
	s_clause 0x4
	global_load_dwordx4 v[36:39], v[36:37], off
	global_load_dwordx4 v[40:43], v[40:41], off
	;; [unrolled: 1-line block ×5, first 2 shown]
.LBB0_14:
	s_or_b32 exec_lo, exec_lo, s6
	v_mov_b32_e32 v108, v110
.LBB0_15:
	s_or_b32 exec_lo, exec_lo, s1
	s_waitcnt vmcnt(0)
	v_add_f64 v[61:62], v[20:21], v[4:5]
	v_add_f64 v[63:64], v[28:29], v[24:25]
	v_add_f64 v[65:66], v[26:27], -v[30:31]
	v_add_f64 v[67:68], v[16:17], v[12:13]
	v_add_f64 v[69:70], v[18:19], -v[14:15]
	v_add_f64 v[71:72], v[6:7], -v[22:23]
	s_mov_b32 s6, 0x37e14327
	s_mov_b32 s14, 0xe976ee23
	;; [unrolled: 1-line block ×17, first 2 shown]
	v_add_f64 v[73:74], v[63:64], v[61:62]
	s_mov_b32 s28, s26
	v_add_f64 v[75:76], v[61:62], -v[67:68]
	v_add_f64 v[77:78], v[69:70], -v[65:66]
	;; [unrolled: 1-line block ×3, first 2 shown]
	v_add_f64 v[65:66], v[69:70], v[65:66]
	v_add_f64 v[69:70], v[71:72], -v[69:70]
	s_mov_b32 s22, 0x37c3f68c
	s_mov_b32 s23, 0xbfdc38aa
	v_add_f64 v[73:74], v[67:68], v[73:74]
	v_add_f64 v[67:68], v[67:68], -v[63:64]
	v_mul_f64 v[75:76], v[75:76], s[6:7]
	v_mul_f64 v[77:78], v[77:78], s[14:15]
	;; [unrolled: 1-line block ×3, first 2 shown]
	v_add_f64 v[83:84], v[0:1], v[73:74]
	v_add_f64 v[0:1], v[63:64], -v[61:62]
	v_mul_f64 v[61:62], v[67:68], s[16:17]
	v_add_f64 v[63:64], v[65:66], v[71:72]
	v_fma_f64 v[65:66], v[67:68], s[16:17], v[75:76]
	v_fma_f64 v[67:68], v[69:70], s[26:27], v[77:78]
	v_fma_f64 v[71:72], v[79:80], s[8:9], -v[77:78]
	v_fma_f64 v[69:70], v[69:70], s[28:29], -v[81:82]
	v_fma_f64 v[73:74], v[73:74], s[18:19], v[83:84]
	v_fma_f64 v[75:76], v[0:1], s[24:25], -v[75:76]
	v_fma_f64 v[0:1], v[0:1], s[20:21], -v[61:62]
	v_fma_f64 v[61:62], v[63:64], s[22:23], v[67:68]
	v_fma_f64 v[67:68], v[63:64], s[22:23], v[71:72]
	;; [unrolled: 1-line block ×3, first 2 shown]
	v_add_f64 v[65:66], v[65:66], v[73:74]
	v_add_f64 v[69:70], v[75:76], v[73:74]
	;; [unrolled: 1-line block ×5, first 2 shown]
	v_add_f64 v[75:76], v[0:1], -v[67:68]
	v_add_f64 v[67:68], v[67:68], v[0:1]
	v_add_f64 v[63:64], v[69:70], -v[63:64]
	v_and_b32_e32 v1, 1, v60
	v_add_f64 v[61:62], v[65:66], -v[61:62]
	v_mad_u32_u24 v0, v110, 56, 0
	v_cmp_eq_u32_e64 s0, 1, v1
	v_cndmask_b32_e64 v1, 0, 0x49f, s0
	v_cmp_gt_u32_e64 s0, 0x4e, v110
	v_lshl_add_u32 v60, v1, 3, v0
	ds_write2_b64 v60, v[83:84], v[71:72] offset1:1
	ds_write2_b64 v60, v[73:74], v[75:76] offset0:2 offset1:3
	ds_write2_b64 v60, v[67:68], v[63:64] offset0:4 offset1:5
	ds_write_b64 v60, v[61:62] offset:48
	s_and_saveexec_b32 s1, s0
	s_cbranch_execz .LBB0_17
; %bb.16:
	v_add_f64 v[61:62], v[52:53], v[32:33]
	v_add_f64 v[63:64], v[48:49], v[36:37]
	v_add_f64 v[65:66], v[46:47], -v[42:43]
	v_add_f64 v[67:68], v[38:39], -v[50:51]
	v_add_f64 v[69:70], v[44:45], v[40:41]
	v_add_f64 v[71:72], v[34:35], -v[54:55]
	v_add_f64 v[73:74], v[63:64], v[61:62]
	v_add_f64 v[75:76], v[65:66], -v[67:68]
	v_add_f64 v[77:78], v[61:62], -v[69:70]
	;; [unrolled: 1-line block ×4, first 2 shown]
	v_add_f64 v[65:66], v[65:66], v[67:68]
	v_add_f64 v[61:62], v[63:64], -v[61:62]
	v_add_f64 v[73:74], v[69:70], v[73:74]
	v_add_f64 v[69:70], v[69:70], -v[63:64]
	v_mul_f64 v[63:64], v[75:76], s[14:15]
	v_mul_f64 v[67:68], v[77:78], s[6:7]
	;; [unrolled: 1-line block ×3, first 2 shown]
	v_add_f64 v[65:66], v[65:66], v[71:72]
	v_add_f64 v[8:9], v[8:9], v[73:74]
	v_mul_f64 v[77:78], v[69:70], s[16:17]
	v_fma_f64 v[71:72], v[81:82], s[26:27], v[63:64]
	v_fma_f64 v[83:84], v[61:62], s[24:25], -v[67:68]
	v_fma_f64 v[67:68], v[69:70], s[16:17], v[67:68]
	v_fma_f64 v[75:76], v[81:82], s[28:29], -v[75:76]
	v_fma_f64 v[63:64], v[79:80], s[8:9], -v[63:64]
	v_fma_f64 v[73:74], v[73:74], s[18:19], v[8:9]
	v_fma_f64 v[61:62], v[61:62], s[20:21], -v[77:78]
	v_fma_f64 v[69:70], v[65:66], s[22:23], v[71:72]
	v_fma_f64 v[71:72], v[65:66], s[22:23], v[75:76]
	v_fma_f64 v[63:64], v[65:66], s[22:23], v[63:64]
	v_add_f64 v[67:68], v[67:68], v[73:74]
	v_add_f64 v[65:66], v[83:84], v[73:74]
	;; [unrolled: 1-line block ×4, first 2 shown]
	v_add_f64 v[73:74], v[65:66], -v[71:72]
	v_add_f64 v[75:76], v[61:62], -v[63:64]
	v_add_f64 v[65:66], v[71:72], v[65:66]
	v_add_f64 v[61:62], v[63:64], v[61:62]
	v_add_f64 v[63:64], v[67:68], -v[69:70]
	v_add_nc_u32_e32 v67, 0x13e8, v60
	v_add_nc_u32_e32 v68, 0x13f8, v60
	;; [unrolled: 1-line block ×3, first 2 shown]
	ds_write2_b64 v67, v[8:9], v[77:78] offset1:1
	ds_write2_b64 v68, v[65:66], v[75:76] offset1:1
	;; [unrolled: 1-line block ×3, first 2 shown]
	ds_write_b64 v60, v[63:64] offset:5144
.LBB0_17:
	s_or_b32 exec_lo, exec_lo, s1
	v_add_f64 v[6:7], v[22:23], v[6:7]
	v_add_f64 v[8:9], v[30:31], v[26:27]
	v_add_f64 v[22:23], v[24:25], -v[28:29]
	v_add_f64 v[14:15], v[18:19], v[14:15]
	v_add_f64 v[12:13], v[16:17], -v[12:13]
	v_add_f64 v[4:5], v[4:5], -v[20:21]
	v_lshlrev_b32_e32 v82, 3, v1
	s_waitcnt lgkmcnt(0)
	s_barrier
	buffer_gl0_inv
	v_add_f64 v[16:17], v[8:9], v[6:7]
	v_add_f64 v[18:19], v[6:7], -v[14:15]
	v_add_f64 v[20:21], v[12:13], -v[22:23]
	;; [unrolled: 1-line block ×3, first 2 shown]
	v_add_f64 v[22:23], v[12:13], v[22:23]
	v_add_f64 v[12:13], v[4:5], -v[12:13]
	v_add_f64 v[16:17], v[14:15], v[16:17]
	v_add_f64 v[14:15], v[14:15], -v[8:9]
	v_mul_f64 v[18:19], v[18:19], s[6:7]
	v_mul_f64 v[20:21], v[20:21], s[14:15]
	;; [unrolled: 1-line block ×3, first 2 shown]
	v_add_f64 v[4:5], v[22:23], v[4:5]
	v_add_f64 v[28:29], v[2:3], v[16:17]
	v_add_f64 v[2:3], v[8:9], -v[6:7]
	v_mul_f64 v[6:7], v[14:15], s[16:17]
	v_fma_f64 v[8:9], v[14:15], s[16:17], v[18:19]
	v_fma_f64 v[14:15], v[12:13], s[26:27], v[20:21]
	v_fma_f64 v[20:21], v[24:25], s[8:9], -v[20:21]
	v_fma_f64 v[12:13], v[12:13], s[28:29], -v[26:27]
	v_fma_f64 v[16:17], v[16:17], s[18:19], v[28:29]
	v_fma_f64 v[18:19], v[2:3], s[24:25], -v[18:19]
	v_fma_f64 v[2:3], v[2:3], s[20:21], -v[6:7]
	v_fma_f64 v[6:7], v[4:5], s[22:23], v[14:15]
	v_fma_f64 v[14:15], v[4:5], s[22:23], v[20:21]
	;; [unrolled: 1-line block ×3, first 2 shown]
	v_add_f64 v[12:13], v[8:9], v[16:17]
	v_add_f64 v[30:31], v[18:19], v[16:17]
	;; [unrolled: 1-line block ×3, first 2 shown]
	v_mul_i32_i24_e32 v8, 0xffffffd0, v110
	v_lshlrev_b32_e32 v3, 3, v110
	v_add3_u32 v111, v0, v8, v82
	v_add3_u32 v109, 0, v82, v3
	ds_read_b64 v[8:9], v109
	ds_read2_b64 v[24:27], v111 offset0:91 offset1:182
	v_add_nc_u32_e32 v112, 0x800, v111
	v_add_nc_u32_e32 v114, 0x1000, v111
	;; [unrolled: 1-line block ×5, first 2 shown]
	ds_read2_b64 v[20:23], v112 offset0:17 offset1:108
	ds_read2_b64 v[16:19], v113 offset0:71 offset1:162
	v_add_f64 v[61:62], v[12:13], -v[6:7]
	v_add_f64 v[63:64], v[30:31], -v[4:5]
	v_add_f64 v[65:66], v[14:15], v[1:2]
	v_add_f64 v[67:68], v[1:2], -v[14:15]
	v_add_f64 v[30:31], v[4:5], v[30:31]
	v_add_f64 v[69:70], v[6:7], v[12:13]
	ds_read2_b64 v[12:15], v114 offset0:125 offset1:216
	ds_read2_b64 v[4:7], v115 offset0:51 offset1:142
	;; [unrolled: 1-line block ×3, first 2 shown]
	s_waitcnt lgkmcnt(0)
	s_barrier
	buffer_gl0_inv
	ds_write2_b64 v60, v[28:29], v[61:62] offset1:1
	ds_write2_b64 v60, v[63:64], v[65:66] offset0:2 offset1:3
	ds_write2_b64 v60, v[67:68], v[30:31] offset0:4 offset1:5
	ds_write_b64 v60, v[69:70] offset:48
	s_and_saveexec_b32 s1, s0
	s_cbranch_execz .LBB0_19
; %bb.18:
	v_add_f64 v[28:29], v[54:55], v[34:35]
	v_add_f64 v[30:31], v[50:51], v[38:39]
	;; [unrolled: 1-line block ×3, first 2 shown]
	v_add_f64 v[36:37], v[36:37], -v[48:49]
	v_add_f64 v[38:39], v[44:45], -v[40:41]
	;; [unrolled: 1-line block ×3, first 2 shown]
	s_mov_b32 s8, 0x36b3c0b5
	s_mov_b32 s9, 0x3fac98ee
	;; [unrolled: 1-line block ×6, first 2 shown]
	v_add_f64 v[40:41], v[30:31], v[28:29]
	v_add_f64 v[42:43], v[28:29], -v[34:35]
	v_add_f64 v[44:45], v[34:35], -v[30:31]
	;; [unrolled: 1-line block ×5, first 2 shown]
	v_add_f64 v[30:31], v[38:39], v[36:37]
	v_add_f64 v[36:37], v[32:33], -v[38:39]
	v_add_f64 v[34:35], v[34:35], v[40:41]
	v_mul_f64 v[38:39], v[42:43], s[6:7]
	s_mov_b32 s6, 0x429ad128
	v_mul_f64 v[40:41], v[44:45], s[8:9]
	v_mul_f64 v[42:43], v[46:47], s[14:15]
	s_mov_b32 s7, 0xbfebfeb5
	s_mov_b32 s14, 0xaaaaaaaa
	v_mul_f64 v[46:47], v[48:49], s[6:7]
	s_mov_b32 s15, 0xbff2aaaa
	v_add_f64 v[30:31], v[30:31], v[32:33]
	v_add_f64 v[10:11], v[10:11], v[34:35]
	v_fma_f64 v[32:33], v[44:45], s[8:9], v[38:39]
	v_fma_f64 v[40:41], v[28:29], s[16:17], -v[40:41]
	s_mov_b32 s17, 0xbfe77f67
	v_fma_f64 v[44:45], v[36:37], s[18:19], v[42:43]
	s_mov_b32 s19, 0x3fd5d0dc
	v_fma_f64 v[42:43], v[48:49], s[6:7], -v[42:43]
	v_fma_f64 v[36:37], v[36:37], s[18:19], -v[46:47]
	;; [unrolled: 1-line block ×3, first 2 shown]
	s_mov_b32 s6, 0x37c3f68c
	s_mov_b32 s7, 0xbfdc38aa
	v_fma_f64 v[34:35], v[34:35], s[14:15], v[10:11]
	v_fma_f64 v[38:39], v[30:31], s[6:7], v[44:45]
	;; [unrolled: 1-line block ×4, first 2 shown]
	v_add_f64 v[32:33], v[32:33], v[34:35]
	v_add_f64 v[28:29], v[28:29], v[34:35]
	;; [unrolled: 1-line block ×3, first 2 shown]
	v_add_f64 v[36:37], v[32:33], -v[38:39]
	v_add_f64 v[40:41], v[28:29], -v[30:31]
	v_add_f64 v[44:45], v[42:43], v[34:35]
	v_add_f64 v[34:35], v[34:35], -v[42:43]
	v_add_f64 v[28:29], v[30:31], v[28:29]
	v_add_f64 v[30:31], v[38:39], v[32:33]
	v_add_nc_u32_e32 v32, 0x5b, v110
	v_mul_u32_u24_e32 v32, 56, v32
	v_add3_u32 v32, 0, v32, v82
	ds_write2_b64 v32, v[10:11], v[36:37] offset1:1
	ds_write2_b64 v32, v[40:41], v[44:45] offset0:2 offset1:3
	ds_write2_b64 v32, v[34:35], v[28:29] offset0:4 offset1:5
	ds_write_b64 v32, v[30:31] offset:48
.LBB0_19:
	s_or_b32 exec_lo, exec_lo, s1
	v_and_b32_e32 v10, 0xff, v110
	s_waitcnt lgkmcnt(0)
	s_barrier
	buffer_gl0_inv
	ds_read2_b64 v[34:37], v111 offset0:91 offset1:182
	v_mul_lo_u16 v10, v10, 37
	ds_read2_b64 v[40:43], v113 offset0:71 offset1:162
	ds_read2_b64 v[44:47], v114 offset0:125 offset1:216
	;; [unrolled: 1-line block ×4, first 2 shown]
	v_lshrrev_b16 v10, 8, v10
	s_mov_b32 s8, 0x42a4c3d2
	s_mov_b32 s9, 0xbfea55e2
	;; [unrolled: 1-line block ×4, first 2 shown]
	v_sub_nc_u16 v11, v110, v10
	s_mov_b32 s18, 0x2ef20147
	s_mov_b32 s19, 0xbfedeba7
	;; [unrolled: 1-line block ×4, first 2 shown]
	v_lshrrev_b16 v11, 1, v11
	s_mov_b32 s7, 0xbfd6b1d8
	s_mov_b32 s27, 0xbfefc445
	;; [unrolled: 1-line block ×4, first 2 shown]
	v_and_b32_e32 v11, 0x7f, v11
	s_mov_b32 s17, 0x3fbedb7d
	s_mov_b32 s25, 0xbfcea1e5
	;; [unrolled: 1-line block ×4, first 2 shown]
	v_add_nc_u16 v10, v11, v10
	s_mov_b32 s39, 0x3fedeba7
	s_mov_b32 s38, s18
	;; [unrolled: 1-line block ×4, first 2 shown]
	v_lshrrev_b16 v83, 2, v10
	s_mov_b32 s37, 0x3fe5384d
	s_mov_b32 s36, s28
	;; [unrolled: 1-line block ×4, first 2 shown]
	v_mul_lo_u16 v10, v83, 7
	s_mov_b32 s21, 0xbfe7f3cc
	s_mov_b32 s41, 0xbfddbe06
	;; [unrolled: 1-line block ×4, first 2 shown]
	v_sub_nc_u16 v117, v110, v10
	v_mov_b32_e32 v10, 12
	s_mov_b32 s22, 0xe00740e9
	s_mov_b32 s23, 0x3fec55a7
	;; [unrolled: 1-line block ×4, first 2 shown]
	v_mul_u32_u24_sdwa v10, v117, v10 dst_sel:DWORD dst_unused:UNUSED_PAD src0_sel:BYTE_0 src1_sel:DWORD
	v_and_b32_e32 v83, 0xffff, v83
	s_mov_b32 s45, 0x3fcea1e5
	s_mov_b32 s44, s24
	;; [unrolled: 1-line block ×3, first 2 shown]
	v_lshlrev_b32_e32 v54, 4, v10
	v_mad_u32_u24 v83, 0x2d8, v83, 0
	s_mov_b32 s42, s8
	global_load_dwordx4 v[30:33], v54, s[12:13]
	s_waitcnt vmcnt(0) lgkmcnt(4)
	v_mul_f64 v[10:11], v[34:35], v[32:33]
	v_fma_f64 v[28:29], v[24:25], v[30:31], v[10:11]
	v_mul_f64 v[10:11], v[24:25], v[32:33]
	v_fma_f64 v[10:11], v[34:35], v[30:31], -v[10:11]
	global_load_dwordx4 v[32:35], v54, s[12:13] offset:16
	s_waitcnt vmcnt(0)
	v_mul_f64 v[24:25], v[36:37], v[34:35]
	v_fma_f64 v[30:31], v[26:27], v[32:33], v[24:25]
	v_mul_f64 v[24:25], v[26:27], v[34:35]
	v_fma_f64 v[24:25], v[36:37], v[32:33], -v[24:25]
	global_load_dwordx4 v[32:35], v54, s[12:13] offset:32
	ds_read2_b64 v[36:39], v112 offset0:17 offset1:108
	s_waitcnt vmcnt(0) lgkmcnt(0)
	v_mul_f64 v[26:27], v[36:37], v[34:35]
	v_fma_f64 v[26:27], v[20:21], v[32:33], v[26:27]
	v_mul_f64 v[20:21], v[20:21], v[34:35]
	v_fma_f64 v[20:21], v[36:37], v[32:33], -v[20:21]
	global_load_dwordx4 v[34:37], v54, s[12:13] offset:48
	s_waitcnt vmcnt(0)
	v_mul_f64 v[32:33], v[38:39], v[36:37]
	v_fma_f64 v[32:33], v[22:23], v[34:35], v[32:33]
	v_mul_f64 v[22:23], v[22:23], v[36:37]
	v_fma_f64 v[22:23], v[38:39], v[34:35], -v[22:23]
	global_load_dwordx4 v[36:39], v54, s[12:13] offset:64
	s_waitcnt vmcnt(0)
	;; [unrolled: 6-line block ×6, first 2 shown]
	v_mul_f64 v[42:43], v[50:51], v[48:49]
	v_fma_f64 v[44:45], v[4:5], v[46:47], v[42:43]
	v_mul_f64 v[4:5], v[4:5], v[48:49]
	v_fma_f64 v[4:5], v[50:51], v[46:47], -v[4:5]
	global_load_dwordx4 v[48:51], v54, s[12:13] offset:144
	v_add_f64 v[78:79], v[22:23], -v[4:5]
	v_mul_f64 v[90:91], v[78:79], s[36:37]
	v_mul_f64 v[94:95], v[78:79], s[34:35]
	s_waitcnt vmcnt(0)
	v_mul_f64 v[42:43], v[52:53], v[50:51]
	v_fma_f64 v[46:47], v[6:7], v[48:49], v[42:43]
	v_mul_f64 v[6:7], v[6:7], v[50:51]
	v_fma_f64 v[6:7], v[52:53], v[48:49], -v[6:7]
	global_load_dwordx4 v[50:53], v54, s[12:13] offset:160
	s_waitcnt vmcnt(0)
	v_mul_f64 v[42:43], v[60:61], v[52:53]
	v_fma_f64 v[48:49], v[0:1], v[50:51], v[42:43]
	v_mul_f64 v[0:1], v[0:1], v[52:53]
	v_fma_f64 v[0:1], v[60:61], v[50:51], -v[0:1]
	global_load_dwordx4 v[50:53], v54, s[12:13] offset:176
	s_waitcnt vmcnt(0)
	v_mul_f64 v[42:43], v[2:3], v[52:53]
	v_mul_f64 v[52:53], v[62:63], v[52:53]
	v_fma_f64 v[42:43], v[62:63], v[50:51], -v[42:43]
	v_fma_f64 v[2:3], v[2:3], v[50:51], v[52:53]
	v_add_f64 v[62:63], v[24:25], -v[0:1]
	v_add_f64 v[52:53], v[10:11], -v[42:43]
	v_add_f64 v[50:51], v[28:29], v[2:3]
	v_mul_f64 v[72:73], v[62:63], s[18:19]
	v_mul_f64 v[80:81], v[62:63], s[24:25]
	;; [unrolled: 1-line block ×5, first 2 shown]
	v_fma_f64 v[54:55], v[50:51], s[0:1], v[64:65]
	v_fma_f64 v[64:65], v[50:51], s[0:1], -v[64:65]
	v_add_f64 v[60:61], v[8:9], v[54:55]
	v_add_f64 v[54:55], v[30:31], v[48:49]
	;; [unrolled: 1-line block ×3, first 2 shown]
	v_fma_f64 v[66:67], v[54:55], s[6:7], v[72:73]
	v_fma_f64 v[68:69], v[54:55], s[14:15], v[80:81]
	;; [unrolled: 1-line block ×3, first 2 shown]
	v_fma_f64 v[72:73], v[54:55], s[6:7], -v[72:73]
	v_add_f64 v[66:67], v[66:67], v[60:61]
	v_fma_f64 v[60:61], v[50:51], s[16:17], v[74:75]
	v_add_f64 v[64:65], v[72:73], v[64:65]
	v_fma_f64 v[72:73], v[50:51], s[16:17], -v[74:75]
	v_fma_f64 v[74:75], v[54:55], s[14:15], -v[80:81]
	v_add_f64 v[60:61], v[8:9], v[60:61]
	v_add_f64 v[72:73], v[8:9], v[72:73]
	;; [unrolled: 1-line block ×3, first 2 shown]
	v_add_f64 v[68:69], v[20:21], -v[6:7]
	v_add_f64 v[60:61], v[26:27], v[46:47]
	v_add_f64 v[72:73], v[74:75], v[72:73]
	v_mul_f64 v[84:85], v[68:69], s[24:25]
	v_mul_f64 v[86:87], v[68:69], s[38:39]
	v_fma_f64 v[76:77], v[60:61], s[14:15], v[84:85]
	v_fma_f64 v[74:75], v[60:61], s[14:15], -v[84:85]
	v_add_f64 v[76:77], v[76:77], v[66:67]
	v_fma_f64 v[66:67], v[60:61], s[6:7], v[86:87]
	v_add_f64 v[64:65], v[74:75], v[64:65]
	v_fma_f64 v[74:75], v[60:61], s[6:7], -v[86:87]
	v_add_f64 v[70:71], v[66:67], v[70:71]
	v_add_f64 v[66:67], v[32:33], v[44:45]
	;; [unrolled: 1-line block ×3, first 2 shown]
	v_fma_f64 v[88:89], v[66:67], s[20:21], v[90:91]
	v_fma_f64 v[74:75], v[66:67], s[20:21], -v[90:91]
	v_add_f64 v[76:77], v[88:89], v[76:77]
	v_fma_f64 v[88:89], v[66:67], s[22:23], v[94:95]
	v_add_f64 v[64:65], v[74:75], v[64:65]
	v_fma_f64 v[74:75], v[66:67], s[22:23], -v[94:95]
	v_add_f64 v[92:93], v[88:89], v[70:71]
	v_add_f64 v[88:89], v[16:17], -v[14:15]
	v_add_f64 v[70:71], v[34:35], v[40:41]
	v_add_f64 v[72:73], v[74:75], v[72:73]
	v_mul_f64 v[96:97], v[88:89], s[30:31]
	v_fma_f64 v[98:99], v[70:71], s[16:17], v[96:97]
	v_fma_f64 v[74:75], v[70:71], s[16:17], -v[96:97]
	v_add_f64 v[102:103], v[98:99], v[76:77]
	v_mul_f64 v[98:99], v[88:89], s[8:9]
	v_add_f64 v[64:65], v[74:75], v[64:65]
	v_fma_f64 v[76:77], v[70:71], s[0:1], v[98:99]
	v_fma_f64 v[74:75], v[70:71], s[0:1], -v[98:99]
	v_add_f64 v[106:107], v[76:77], v[92:93]
	v_add_f64 v[92:93], v[18:19], -v[12:13]
	v_add_f64 v[76:77], v[36:37], v[38:39]
	v_add_f64 v[72:73], v[74:75], v[72:73]
	v_mul_f64 v[100:101], v[92:93], s[34:35]
	v_fma_f64 v[104:105], v[76:77], s[22:23], v[100:101]
	v_fma_f64 v[74:75], v[76:77], s[22:23], -v[100:101]
	v_add_f64 v[104:105], v[104:105], v[102:103]
	v_mul_f64 v[102:103], v[92:93], s[28:29]
	v_add_f64 v[64:65], v[74:75], v[64:65]
	v_fma_f64 v[118:119], v[76:77], s[20:21], v[102:103]
	v_fma_f64 v[74:75], v[76:77], s[20:21], -v[102:103]
	v_add_f64 v[106:107], v[118:119], v[106:107]
	v_mov_b32_e32 v118, 3
	v_add_f64 v[72:73], v[74:75], v[72:73]
	v_lshlrev_b32_sdwa v117, v118, v117 dst_sel:DWORD dst_unused:UNUSED_PAD src0_sel:DWORD src1_sel:BYTE_0
	v_mul_f64 v[118:119], v[62:63], s[36:37]
	v_add3_u32 v117, v83, v117, v82
	ds_read_b64 v[82:83], v109
	s_waitcnt lgkmcnt(0)
	s_barrier
	buffer_gl0_inv
	ds_write2_b64 v117, v[104:105], v[106:107] offset0:14 offset1:21
	v_mul_f64 v[104:105], v[52:53], s[18:19]
	ds_write2_b64 v117, v[72:73], v[64:65] offset0:70 offset1:77
	v_fma_f64 v[120:121], v[54:55], s[20:21], v[118:119]
	v_fma_f64 v[106:107], v[50:51], s[6:7], v[104:105]
	v_fma_f64 v[104:105], v[50:51], s[6:7], -v[104:105]
	v_add_f64 v[106:107], v[8:9], v[106:107]
	v_add_f64 v[104:105], v[8:9], v[104:105]
	;; [unrolled: 1-line block ×3, first 2 shown]
	v_mul_f64 v[120:121], v[52:53], s[28:29]
	v_fma_f64 v[122:123], v[50:51], s[20:21], v[120:121]
	v_add_f64 v[122:123], v[8:9], v[122:123]
	v_add_f64 v[122:123], v[126:127], v[122:123]
	v_mul_f64 v[126:127], v[68:69], s[34:35]
	v_fma_f64 v[128:129], v[60:61], s[22:23], v[126:127]
	v_add_f64 v[106:107], v[128:129], v[106:107]
	v_mul_f64 v[128:129], v[68:69], s[8:9]
	v_fma_f64 v[130:131], v[60:61], s[0:1], v[128:129]
	;; [unrolled: 3-line block ×8, first 2 shown]
	v_add_f64 v[122:123], v[142:143], v[122:123]
	v_mul_f64 v[142:143], v[62:63], s[34:35]
	v_mul_f64 v[62:63], v[62:63], s[8:9]
	ds_write2_b64 v117, v[106:107], v[122:123] offset0:28 offset1:35
	v_mul_f64 v[106:107], v[52:53], s[24:25]
	v_mul_f64 v[52:53], v[52:53], s[40:41]
	v_fma_f64 v[144:145], v[54:55], s[22:23], v[142:143]
	v_fma_f64 v[142:143], v[54:55], s[22:23], -v[142:143]
	v_fma_f64 v[72:73], v[54:55], s[0:1], v[62:63]
	v_fma_f64 v[122:123], v[50:51], s[14:15], v[106:107]
	v_fma_f64 v[106:107], v[50:51], s[14:15], -v[106:107]
	v_fma_f64 v[64:65], v[50:51], s[22:23], v[52:53]
	v_add_f64 v[122:123], v[8:9], v[122:123]
	v_add_f64 v[106:107], v[8:9], v[106:107]
	;; [unrolled: 1-line block ×5, first 2 shown]
	v_mul_f64 v[142:143], v[68:69], s[28:29]
	v_mul_f64 v[68:69], v[68:69], s[26:27]
	v_add_f64 v[64:65], v[72:73], v[64:65]
	v_fma_f64 v[144:145], v[60:61], s[20:21], v[142:143]
	v_fma_f64 v[72:73], v[60:61], s[16:17], v[68:69]
	v_fma_f64 v[142:143], v[60:61], s[20:21], -v[142:143]
	v_add_f64 v[122:123], v[144:145], v[122:123]
	v_add_f64 v[64:65], v[72:73], v[64:65]
	v_mul_f64 v[72:73], v[78:79], s[18:19]
	v_add_f64 v[106:107], v[142:143], v[106:107]
	v_mul_f64 v[142:143], v[78:79], s[42:43]
	v_fma_f64 v[74:75], v[66:67], s[6:7], v[72:73]
	v_fma_f64 v[144:145], v[66:67], s[0:1], v[142:143]
	v_fma_f64 v[142:143], v[66:67], s[0:1], -v[142:143]
	v_add_f64 v[64:65], v[74:75], v[64:65]
	v_mul_f64 v[74:75], v[88:89], s[28:29]
	v_add_f64 v[122:123], v[144:145], v[122:123]
	v_add_f64 v[106:107], v[142:143], v[106:107]
	v_mul_f64 v[142:143], v[88:89], s[18:19]
	v_fma_f64 v[78:79], v[70:71], s[20:21], v[74:75]
	v_fma_f64 v[144:145], v[70:71], s[6:7], v[142:143]
	v_fma_f64 v[142:143], v[70:71], s[6:7], -v[142:143]
	v_add_f64 v[64:65], v[78:79], v[64:65]
	v_mul_f64 v[78:79], v[92:93], s[24:25]
	v_add_f64 v[122:123], v[144:145], v[122:123]
	v_add_f64 v[106:107], v[142:143], v[106:107]
	v_mul_f64 v[142:143], v[92:93], s[30:31]
	v_fma_f64 v[80:81], v[76:77], s[14:15], v[78:79]
	v_fma_f64 v[144:145], v[76:77], s[16:17], v[142:143]
	v_fma_f64 v[142:143], v[76:77], s[16:17], -v[142:143]
	v_add_f64 v[64:65], v[80:81], v[64:65]
	v_add_f64 v[80:81], v[8:9], v[28:29]
	;; [unrolled: 1-line block ×5, first 2 shown]
	ds_write2_b64 v117, v[122:123], v[106:107] offset0:42 offset1:49
	v_fma_f64 v[106:107], v[54:55], s[20:21], -v[118:119]
	v_fma_f64 v[118:119], v[54:55], s[16:17], -v[124:125]
	v_add_f64 v[80:81], v[80:81], v[26:27]
	v_add_f64 v[104:105], v[106:107], v[104:105]
	v_fma_f64 v[106:107], v[50:51], s[20:21], -v[120:121]
	v_fma_f64 v[50:51], v[50:51], s[22:23], -v[52:53]
	;; [unrolled: 1-line block ×3, first 2 shown]
	v_add_f64 v[80:81], v[80:81], v[32:33]
	v_add_f64 v[106:107], v[8:9], v[106:107]
	;; [unrolled: 1-line block ×3, first 2 shown]
	v_add_f64 v[50:51], v[28:29], -v[2:3]
	v_add_f64 v[28:29], v[34:35], -v[40:41]
	v_add_f64 v[80:81], v[80:81], v[34:35]
	v_fma_f64 v[34:35], v[70:71], s[20:21], -v[74:75]
	v_add_f64 v[106:107], v[118:119], v[106:107]
	v_add_f64 v[8:9], v[52:53], v[8:9]
	v_fma_f64 v[118:119], v[60:61], s[22:23], -v[126:127]
	v_add_f64 v[80:81], v[80:81], v[36:37]
	;; [unrolled: 3-line block ×4, first 2 shown]
	v_add_f64 v[40:41], v[10:11], v[42:43]
	v_add_f64 v[104:105], v[118:119], v[104:105]
	v_fma_f64 v[118:119], v[66:67], s[14:15], -v[132:133]
	v_add_f64 v[80:81], v[80:81], v[44:45]
	v_add_f64 v[106:107], v[118:119], v[106:107]
	v_fma_f64 v[118:119], v[70:71], s[14:15], -v[134:135]
	v_add_f64 v[80:81], v[80:81], v[46:47]
	v_add_f64 v[46:47], v[26:27], -v[46:47]
	v_add_f64 v[26:27], v[36:37], -v[38:39]
	v_add_f64 v[38:39], v[82:83], v[10:11]
	v_fma_f64 v[36:37], v[76:77], s[14:15], -v[78:79]
	v_add_f64 v[104:105], v[118:119], v[104:105]
	v_fma_f64 v[118:119], v[70:71], s[22:23], -v[136:137]
	v_add_f64 v[80:81], v[80:81], v[48:49]
	v_add_f64 v[48:49], v[30:31], -v[48:49]
	v_add_f64 v[30:31], v[32:33], -v[44:45]
	v_add_f64 v[10:11], v[38:39], v[24:25]
	v_add_f64 v[38:39], v[24:25], v[0:1]
	v_mul_f64 v[44:45], v[40:41], s[22:23]
	v_fma_f64 v[32:33], v[66:67], s[6:7], -v[72:73]
	v_add_f64 v[106:107], v[118:119], v[106:107]
	v_fma_f64 v[118:119], v[76:77], s[0:1], -v[138:139]
	v_add_f64 v[80:81], v[80:81], v[2:3]
	;; [unrolled: 2-line block ×3, first 2 shown]
	v_mul_f64 v[52:53], v[38:39], s[0:1]
	v_fma_f64 v[24:25], v[50:51], s[34:35], v[44:45]
	v_mul_f64 v[70:71], v[38:39], s[6:7]
	v_mul_f64 v[102:103], v[38:39], s[16:17]
	v_add_f64 v[104:105], v[118:119], v[104:105]
	v_fma_f64 v[118:119], v[76:77], s[6:7], -v[140:141]
	v_mul_f64 v[76:77], v[38:39], s[14:15]
	ds_write2_b64 v117, v[80:81], v[64:65] offset1:7
	v_add_f64 v[2:3], v[2:3], v[8:9]
	v_add_f64 v[8:9], v[10:11], v[20:21]
	v_mul_f64 v[62:63], v[60:61], s[16:17]
	v_fma_f64 v[54:55], v[48:49], s[42:43], v[52:53]
	v_add_f64 v[24:25], v[82:83], v[24:25]
	v_add_f64 v[64:65], v[22:23], v[4:5]
	v_fma_f64 v[72:73], v[48:49], s[38:39], v[70:71]
	v_add_f64 v[106:107], v[118:119], v[106:107]
	v_fma_f64 v[78:79], v[48:49], s[44:45], v[76:77]
	v_add_f64 v[2:3], v[32:33], v[2:3]
	v_add_f64 v[8:9], v[8:9], v[22:23]
	v_fma_f64 v[10:11], v[46:47], s[30:31], v[62:63]
	v_add_f64 v[32:33], v[16:17], v[14:15]
	v_add_f64 v[24:25], v[54:55], v[24:25]
	v_mul_f64 v[66:67], v[64:65], s[6:7]
	v_add_f64 v[54:55], v[18:19], v[12:13]
	ds_write2_b64 v117, v[106:107], v[104:105] offset0:56 offset1:63
	v_fma_f64 v[104:105], v[48:49], s[26:27], v[102:103]
	v_add_f64 v[2:3], v[34:35], v[2:3]
	v_add_f64 v[8:9], v[8:9], v[16:17]
	v_mul_f64 v[34:35], v[32:33], s[20:21]
	v_add_f64 v[10:11], v[10:11], v[24:25]
	v_add_f64 v[2:3], v[36:37], v[2:3]
	;; [unrolled: 1-line block ×3, first 2 shown]
	v_mul_f64 v[36:37], v[54:55], s[14:15]
	ds_write_b64 v117, v[2:3] offset:672
	v_add_f64 v[8:9], v[8:9], v[12:13]
	s_waitcnt lgkmcnt(0)
	s_barrier
	buffer_gl0_inv
	v_add_f64 v[8:9], v[8:9], v[14:15]
	v_add_f64 v[4:5], v[8:9], v[4:5]
	v_fma_f64 v[8:9], v[30:31], s[38:39], v[66:67]
	v_add_f64 v[4:5], v[4:5], v[6:7]
	v_add_f64 v[8:9], v[8:9], v[10:11]
	v_fma_f64 v[6:7], v[28:29], s[36:37], v[34:35]
	v_fma_f64 v[34:35], v[28:29], s[28:29], v[34:35]
	v_add_f64 v[0:1], v[4:5], v[0:1]
	v_fma_f64 v[4:5], v[26:27], s[44:45], v[36:37]
	v_add_f64 v[6:7], v[6:7], v[8:9]
	;; [unrolled: 2-line block ×3, first 2 shown]
	v_add_f64 v[68:69], v[4:5], v[6:7]
	ds_read_b64 v[24:25], v109
	ds_read2_b64 v[12:15], v112 offset0:17 offset1:108
	ds_read2_b64 v[4:7], v113 offset0:71 offset1:162
	ds_read2_b64 v[0:3], v114 offset0:125 offset1:216
	ds_read2_b64 v[8:11], v115 offset0:51 offset1:142
	ds_read2_b64 v[16:19], v116 offset0:105 offset1:196
	ds_read2_b64 v[20:23], v111 offset0:91 offset1:182
	s_waitcnt lgkmcnt(0)
	s_barrier
	buffer_gl0_inv
	ds_write2_b64 v117, v[42:43], v[68:69] offset1:7
	v_mul_f64 v[42:43], v[40:41], s[0:1]
	v_fma_f64 v[68:69], v[50:51], s[42:43], v[42:43]
	v_add_f64 v[68:69], v[82:83], v[68:69]
	v_add_f64 v[68:69], v[72:73], v[68:69]
	v_mul_f64 v[72:73], v[40:41], s[16:17]
	v_fma_f64 v[74:75], v[50:51], s[30:31], v[72:73]
	v_add_f64 v[74:75], v[82:83], v[74:75]
	v_add_f64 v[74:75], v[78:79], v[74:75]
	v_mul_f64 v[78:79], v[60:61], s[14:15]
	v_fma_f64 v[80:81], v[46:47], s[44:45], v[78:79]
	v_add_f64 v[68:69], v[80:81], v[68:69]
	v_mul_f64 v[80:81], v[60:61], s[6:7]
	v_fma_f64 v[84:85], v[46:47], s[18:19], v[80:81]
	;; [unrolled: 3-line block ×8, first 2 shown]
	v_add_f64 v[74:75], v[96:97], v[74:75]
	v_mul_f64 v[96:97], v[38:39], s[20:21]
	v_mul_f64 v[38:39], v[38:39], s[22:23]
	ds_write2_b64 v117, v[68:69], v[74:75] offset0:14 offset1:21
	v_mul_f64 v[68:69], v[40:41], s[6:7]
	v_fma_f64 v[98:99], v[48:49], s[28:29], v[96:97]
	v_fma_f64 v[74:75], v[50:51], s[38:39], v[68:69]
	v_add_f64 v[74:75], v[82:83], v[74:75]
	v_add_f64 v[74:75], v[98:99], v[74:75]
	v_mul_f64 v[98:99], v[40:41], s[20:21]
	v_mul_f64 v[40:41], v[40:41], s[14:15]
	v_fma_f64 v[100:101], v[50:51], s[36:37], v[98:99]
	v_add_f64 v[100:101], v[82:83], v[100:101]
	v_add_f64 v[100:101], v[104:105], v[100:101]
	v_mul_f64 v[104:105], v[60:61], s[22:23]
	v_fma_f64 v[106:107], v[46:47], s[40:41], v[104:105]
	v_add_f64 v[74:75], v[106:107], v[74:75]
	v_mul_f64 v[106:107], v[60:61], s[0:1]
	v_fma_f64 v[112:113], v[46:47], s[42:43], v[106:107]
	;; [unrolled: 3-line block ×5, first 2 shown]
	v_add_f64 v[74:75], v[120:121], v[74:75]
	v_mul_f64 v[120:121], v[32:33], s[22:23]
	v_mul_f64 v[32:33], v[32:33], s[6:7]
	v_fma_f64 v[122:123], v[28:29], s[40:41], v[120:121]
	v_add_f64 v[100:101], v[122:123], v[100:101]
	v_mul_f64 v[122:123], v[54:55], s[0:1]
	v_fma_f64 v[124:125], v[26:27], s[8:9], v[122:123]
	v_add_f64 v[74:75], v[124:125], v[74:75]
	;; [unrolled: 3-line block ×3, first 2 shown]
	ds_write2_b64 v117, v[74:75], v[100:101] offset0:28 offset1:35
	v_fma_f64 v[74:75], v[50:51], s[44:45], v[40:41]
	v_fma_f64 v[40:41], v[50:51], s[24:25], v[40:41]
	;; [unrolled: 1-line block ×4, first 2 shown]
	v_add_f64 v[74:75], v[82:83], v[74:75]
	v_add_f64 v[40:41], v[82:83], v[40:41]
	;; [unrolled: 1-line block ×4, first 2 shown]
	v_mul_f64 v[40:41], v[60:61], s[20:21]
	v_fma_f64 v[60:61], v[46:47], s[36:37], v[40:41]
	v_fma_f64 v[40:41], v[46:47], s[28:29], v[40:41]
	v_add_f64 v[60:61], v[60:61], v[74:75]
	v_add_f64 v[38:39], v[40:41], v[38:39]
	v_mul_f64 v[40:41], v[64:65], s[0:1]
	v_fma_f64 v[64:65], v[30:31], s[8:9], v[40:41]
	v_fma_f64 v[40:41], v[30:31], s[42:43], v[40:41]
	v_add_f64 v[60:61], v[64:65], v[60:61]
	v_add_f64 v[38:39], v[40:41], v[38:39]
	v_fma_f64 v[40:41], v[28:29], s[38:39], v[32:33]
	v_fma_f64 v[32:33], v[28:29], s[18:19], v[32:33]
	v_add_f64 v[40:41], v[40:41], v[60:61]
	v_add_f64 v[32:33], v[32:33], v[38:39]
	v_mul_f64 v[38:39], v[54:55], s[16:17]
	v_fma_f64 v[54:55], v[26:27], s[26:27], v[38:39]
	v_fma_f64 v[38:39], v[26:27], s[30:31], v[38:39]
	v_add_f64 v[40:41], v[54:55], v[40:41]
	v_add_f64 v[32:33], v[38:39], v[32:33]
	v_fma_f64 v[38:39], v[48:49], s[36:37], v[96:97]
	ds_write2_b64 v117, v[40:41], v[32:33] offset0:42 offset1:49
	v_fma_f64 v[32:33], v[50:51], s[18:19], v[68:69]
	v_fma_f64 v[40:41], v[48:49], s[30:31], v[102:103]
	v_add_f64 v[32:33], v[82:83], v[32:33]
	v_add_f64 v[32:33], v[38:39], v[32:33]
	v_fma_f64 v[38:39], v[50:51], s[28:29], v[98:99]
	v_add_f64 v[38:39], v[82:83], v[38:39]
	v_add_f64 v[38:39], v[40:41], v[38:39]
	v_fma_f64 v[40:41], v[46:47], s[34:35], v[104:105]
	v_add_f64 v[32:33], v[40:41], v[32:33]
	v_fma_f64 v[40:41], v[46:47], s[8:9], v[106:107]
	;; [unrolled: 2-line block ×9, first 2 shown]
	v_fma_f64 v[44:45], v[48:49], s[18:19], v[70:71]
	ds_write2_b64 v117, v[38:39], v[32:33] offset0:56 offset1:63
	v_fma_f64 v[32:33], v[50:51], s[8:9], v[42:43]
	v_fma_f64 v[38:39], v[50:51], s[26:27], v[72:73]
	;; [unrolled: 1-line block ×4, first 2 shown]
	v_add_f64 v[40:41], v[82:83], v[40:41]
	v_fma_f64 v[50:51], v[46:47], s[26:27], v[62:63]
	v_fma_f64 v[52:53], v[46:47], s[24:25], v[78:79]
	v_fma_f64 v[46:47], v[46:47], s[38:39], v[80:81]
	v_add_f64 v[32:33], v[82:83], v[32:33]
	v_add_f64 v[38:39], v[82:83], v[38:39]
	;; [unrolled: 1-line block ×3, first 2 shown]
	v_fma_f64 v[42:43], v[30:31], s[18:19], v[66:67]
	v_add_f64 v[32:33], v[44:45], v[32:33]
	v_add_f64 v[38:39], v[48:49], v[38:39]
	v_fma_f64 v[44:45], v[30:31], s[36:37], v[84:85]
	v_fma_f64 v[30:31], v[30:31], s[34:35], v[86:87]
	v_add_f64 v[40:41], v[50:51], v[40:41]
	v_add_f64 v[32:33], v[52:53], v[32:33]
	v_add_f64 v[38:39], v[46:47], v[38:39]
	v_fma_f64 v[46:47], v[28:29], s[30:31], v[88:89]
	v_fma_f64 v[28:29], v[28:29], s[8:9], v[90:91]
	v_add_f64 v[32:33], v[44:45], v[32:33]
	;; [unrolled: 5-line block ×3, first 2 shown]
	v_add_f64 v[28:29], v[28:29], v[30:31]
	v_add_f64 v[30:31], v[34:35], v[38:39]
	;; [unrolled: 1-line block ×5, first 2 shown]
	ds_write2_b64 v117, v[26:27], v[32:33] offset0:70 offset1:77
	ds_write_b64 v117, v[28:29] offset:672
	s_waitcnt lgkmcnt(0)
	s_barrier
	buffer_gl0_inv
	s_and_saveexec_b32 s33, vcc_lo
	s_cbranch_execz .LBB0_21
; %bb.20:
	v_mul_u32_u24_e32 v26, 12, v110
	v_add_nc_u32_e32 v61, 0x1000, v111
	v_lshlrev_b64 v[56:57], 4, v[56:57]
	v_lshlrev_b32_e32 v60, 4, v26
	s_clause 0x3
	global_load_dwordx4 v[26:29], v60, s[12:13] offset:1344
	global_load_dwordx4 v[30:33], v60, s[12:13] offset:1360
	;; [unrolled: 1-line block ×4, first 2 shown]
	ds_read2_b64 v[42:45], v111 offset0:91 offset1:182
	s_waitcnt vmcnt(3)
	v_mul_f64 v[46:47], v[20:21], v[26:27]
	v_mul_f64 v[48:49], v[20:21], v[28:29]
	s_waitcnt vmcnt(2)
	v_mul_f64 v[50:51], v[22:23], v[30:31]
	v_mul_f64 v[52:53], v[22:23], v[32:33]
	s_waitcnt lgkmcnt(0)
	v_fma_f64 v[20:21], v[42:43], v[28:29], v[46:47]
	v_fma_f64 v[22:23], v[42:43], v[26:27], -v[48:49]
	global_load_dwordx4 v[46:49], v60, s[12:13] offset:1376
	v_fma_f64 v[26:27], v[44:45], v[32:33], v[50:51]
	v_fma_f64 v[28:29], v[44:45], v[30:31], -v[52:53]
	global_load_dwordx4 v[50:53], v60, s[12:13] offset:1392
	v_add_nc_u32_e32 v42, 0x1c00, v111
	s_waitcnt vmcnt(3)
	v_mul_f64 v[30:31], v[18:19], v[34:35]
	v_mul_f64 v[32:33], v[18:19], v[36:37]
	ds_read2_b64 v[42:45], v42 offset0:105 offset1:196
	s_waitcnt lgkmcnt(0)
	v_fma_f64 v[18:19], v[44:45], v[36:37], v[30:31]
	v_fma_f64 v[30:31], v[44:45], v[34:35], -v[32:33]
	s_waitcnt vmcnt(2)
	v_mul_f64 v[32:33], v[16:17], v[38:39]
	v_mul_f64 v[34:35], v[16:17], v[40:41]
	v_add_nc_u32_e32 v36, 0x800, v111
	v_fma_f64 v[16:17], v[42:43], v[40:41], v[32:33]
	v_fma_f64 v[32:33], v[42:43], v[38:39], -v[34:35]
	ds_read2_b64 v[34:37], v36 offset0:17 offset1:108
	s_waitcnt vmcnt(1)
	v_mul_f64 v[38:39], v[12:13], v[46:47]
	v_mul_f64 v[40:41], v[12:13], v[48:49]
	s_waitcnt vmcnt(0)
	v_mul_f64 v[44:45], v[14:15], v[52:53]
	s_waitcnt lgkmcnt(0)
	v_fma_f64 v[12:13], v[34:35], v[48:49], v[38:39]
	v_fma_f64 v[34:35], v[34:35], v[46:47], -v[40:41]
	global_load_dwordx4 v[40:43], v60, s[12:13] offset:1488
	v_mul_f64 v[38:39], v[14:15], v[50:51]
	v_add_nc_u32_e32 v48, 0x1800, v111
	v_fma_f64 v[14:15], v[36:37], v[52:53], v[38:39]
	v_fma_f64 v[36:37], v[36:37], v[50:51], -v[44:45]
	global_load_dwordx4 v[44:47], v60, s[12:13] offset:1472
	ds_read2_b64 v[48:51], v48 offset0:51 offset1:142
	v_add_nc_u32_e32 v52, 0xc00, v111
	s_waitcnt vmcnt(1)
	v_mul_f64 v[38:39], v[10:11], v[40:41]
	v_mul_f64 v[10:11], v[10:11], v[42:43]
	s_waitcnt lgkmcnt(0)
	v_fma_f64 v[38:39], v[50:51], v[42:43], v[38:39]
	v_fma_f64 v[40:41], v[50:51], v[40:41], -v[10:11]
	s_waitcnt vmcnt(0)
	v_mul_f64 v[10:11], v[8:9], v[44:45]
	v_mul_f64 v[42:43], v[8:9], v[46:47]
	v_fma_f64 v[8:9], v[48:49], v[46:47], v[10:11]
	v_fma_f64 v[10:11], v[48:49], v[44:45], -v[42:43]
	s_clause 0x1
	global_load_dwordx4 v[44:47], v60, s[12:13] offset:1424
	global_load_dwordx4 v[48:51], v60, s[12:13] offset:1408
	ds_read2_b64 v[52:55], v52 offset0:71 offset1:162
	s_waitcnt vmcnt(1)
	v_mul_f64 v[42:43], v[6:7], v[44:45]
	v_mul_f64 v[6:7], v[6:7], v[46:47]
	s_waitcnt lgkmcnt(0)
	v_fma_f64 v[42:43], v[54:55], v[46:47], v[42:43]
	v_fma_f64 v[6:7], v[54:55], v[44:45], -v[6:7]
	s_waitcnt vmcnt(0)
	v_mul_f64 v[44:45], v[4:5], v[48:49]
	v_mul_f64 v[46:47], v[4:5], v[50:51]
	v_fma_f64 v[4:5], v[52:53], v[50:51], v[44:45]
	v_fma_f64 v[44:45], v[52:53], v[48:49], -v[46:47]
	s_clause 0x1
	global_load_dwordx4 v[48:51], v60, s[12:13] offset:1456
	global_load_dwordx4 v[52:55], v60, s[12:13] offset:1440
	ds_read2_b64 v[60:63], v61 offset0:125 offset1:216
	s_waitcnt vmcnt(1)
	v_mul_f64 v[46:47], v[2:3], v[48:49]
	v_mul_f64 v[2:3], v[2:3], v[50:51]
	s_waitcnt lgkmcnt(0)
	v_fma_f64 v[46:47], v[62:63], v[50:51], v[46:47]
	v_fma_f64 v[48:49], v[62:63], v[48:49], -v[2:3]
	s_waitcnt vmcnt(0)
	v_mul_f64 v[2:3], v[0:1], v[52:53]
	v_mul_f64 v[0:1], v[0:1], v[54:55]
	v_add_f64 v[64:65], v[44:45], v[48:49]
	v_fma_f64 v[50:51], v[60:61], v[54:55], v[2:3]
	v_fma_f64 v[52:53], v[60:61], v[52:53], -v[0:1]
	v_mul_lo_u32 v0, s5, v58
	v_mul_lo_u32 v1, s4, v59
	v_mad_u64_u32 v[58:59], null, s4, v58, 0
	v_mad_u64_u32 v[60:61], null, s2, v108, 0
	ds_read_b64 v[54:55], v109
	v_add_f64 v[2:3], v[24:25], v[20:21]
	v_add3_u32 v59, v59, v1, v0
	v_mov_b32_e32 v0, v61
	v_lshlrev_b64 v[58:59], 4, v[58:59]
	v_mad_u64_u32 v[0:1], null, s3, v108, v[0:1]
	v_add_co_u32 v58, vcc_lo, s10, v58
	v_add_co_ci_u32_e32 v59, vcc_lo, s11, v59, vcc_lo
	v_mov_b32_e32 v61, v0
	s_waitcnt lgkmcnt(0)
	v_add_f64 v[0:1], v[54:55], v[22:23]
	v_add_co_u32 v58, vcc_lo, v58, v56
	v_add_f64 v[2:3], v[26:27], v[2:3]
	v_add_co_ci_u32_e32 v59, vcc_lo, v59, v57, vcc_lo
	v_lshlrev_b64 v[56:57], 4, v[60:61]
	v_add_f64 v[60:61], v[22:23], -v[30:31]
	v_add_f64 v[22:23], v[22:23], v[30:31]
	v_add_co_u32 v56, vcc_lo, v58, v56
	v_add_co_ci_u32_e32 v57, vcc_lo, v59, v57, vcc_lo
	v_add_f64 v[0:1], v[28:29], v[0:1]
	v_add_f64 v[2:3], v[12:13], v[2:3]
	v_mul_f64 v[66:67], v[60:61], s[40:41]
	v_mul_f64 v[90:91], v[60:61], s[8:9]
	;; [unrolled: 1-line block ×6, first 2 shown]
	v_add_f64 v[0:1], v[34:35], v[0:1]
	v_add_f64 v[2:3], v[14:15], v[2:3]
	;; [unrolled: 1-line block ×20, first 2 shown]
	global_store_dwordx4 v[56:57], v[0:3], off
	v_add_f64 v[56:57], v[20:21], -v[18:19]
	v_add_f64 v[20:21], v[20:21], v[18:19]
	v_add_f64 v[18:19], v[28:29], -v[32:33]
	v_add_f64 v[28:29], v[28:29], v[32:33]
	;; [unrolled: 2-line block ×6, first 2 shown]
	v_add_f64 v[10:11], v[14:15], -v[8:9]
	v_add_f64 v[8:9], v[44:45], -v[48:49]
	;; [unrolled: 1-line block ×3, first 2 shown]
	v_add_f64 v[44:45], v[4:5], v[46:47]
	v_add_f64 v[46:47], v[6:7], v[52:53]
	v_add_f64 v[48:49], v[6:7], -v[52:53]
	v_add_f64 v[52:53], v[42:43], -v[50:51]
	v_add_f64 v[42:43], v[42:43], v[50:51]
	v_add_nc_u32_e32 v6, 0x5b, v108
	v_mul_f64 v[30:31], v[56:57], s[40:41]
	v_mul_f64 v[86:87], v[56:57], s[8:9]
	;; [unrolled: 1-line block ×22, first 2 shown]
	v_fma_f64 v[0:1], v[22:23], s[22:23], -v[30:31]
	v_mul_f64 v[111:112], v[56:57], s[26:27]
	v_fma_f64 v[4:5], v[26:27], s[0:1], v[68:69]
	v_mul_f64 v[113:114], v[32:33], s[24:25]
	v_fma_f64 v[2:3], v[28:29], s[0:1], -v[50:51]
	v_mul_f64 v[117:118], v[18:19], s[24:25]
	v_mul_f64 v[119:120], v[40:41], s[38:39]
	;; [unrolled: 1-line block ×17, first 2 shown]
	v_add_f64 v[0:1], v[54:55], v[0:1]
	v_mul_f64 v[153:154], v[8:9], s[44:45]
	v_mul_f64 v[155:156], v[52:53], s[42:43]
	;; [unrolled: 1-line block ×13, first 2 shown]
	v_add_f64 v[0:1], v[2:3], v[0:1]
	v_fma_f64 v[2:3], v[20:21], s[22:23], v[66:67]
	v_fma_f64 v[167:168], v[26:27], s[16:17], v[165:166]
	v_fma_f64 v[185:186], v[28:29], s[22:23], -v[32:33]
	v_fma_f64 v[187:188], v[26:27], s[22:23], v[18:19]
	v_fma_f64 v[32:33], v[28:29], s[22:23], v[32:33]
	v_fma_f64 v[18:19], v[26:27], s[22:23], -v[18:19]
	v_add_f64 v[2:3], v[24:25], v[2:3]
	v_add_f64 v[2:3], v[4:5], v[2:3]
	v_fma_f64 v[4:5], v[34:35], s[16:17], -v[70:71]
	v_add_f64 v[0:1], v[4:5], v[0:1]
	v_fma_f64 v[4:5], v[38:39], s[16:17], v[72:73]
	v_add_f64 v[2:3], v[4:5], v[2:3]
	v_fma_f64 v[4:5], v[36:37], s[6:7], -v[74:75]
	v_add_f64 v[0:1], v[4:5], v[0:1]
	v_fma_f64 v[4:5], v[62:63], s[6:7], v[76:77]
	;; [unrolled: 4-line block ×4, first 2 shown]
	v_add_f64 v[0:1], v[0:1], v[4:5]
	v_mad_u64_u32 v[4:5], null, s2, v6, 0
	v_mad_u64_u32 v[5:6], null, s3, v6, v[5:6]
	v_add_nc_u32_e32 v6, 0xb6, v108
	v_lshlrev_b64 v[4:5], 4, v[4:5]
	v_add_co_u32 v4, vcc_lo, v58, v4
	v_add_co_ci_u32_e32 v5, vcc_lo, v59, v5, vcc_lo
	global_store_dwordx4 v[4:5], v[0:3], off
	v_fma_f64 v[0:1], v[22:23], s[0:1], -v[86:87]
	v_fma_f64 v[2:3], v[28:29], s[6:7], -v[88:89]
	v_fma_f64 v[4:5], v[26:27], s[6:7], v[92:93]
	v_fma_f64 v[88:89], v[28:29], s[6:7], v[88:89]
	;; [unrolled: 1-line block ×3, first 2 shown]
	v_fma_f64 v[92:93], v[26:27], s[6:7], -v[92:93]
	v_add_f64 v[0:1], v[54:55], v[0:1]
	v_add_f64 v[86:87], v[54:55], v[86:87]
	;; [unrolled: 1-line block ×3, first 2 shown]
	v_fma_f64 v[2:3], v[20:21], s[0:1], v[90:91]
	v_fma_f64 v[90:91], v[20:21], s[0:1], -v[90:91]
	v_add_f64 v[2:3], v[24:25], v[2:3]
	v_add_f64 v[90:91], v[24:25], v[90:91]
	;; [unrolled: 1-line block ×3, first 2 shown]
	v_fma_f64 v[4:5], v[34:35], s[14:15], -v[94:95]
	v_fma_f64 v[94:95], v[34:35], s[14:15], v[94:95]
	v_add_f64 v[0:1], v[4:5], v[0:1]
	v_fma_f64 v[4:5], v[38:39], s[14:15], v[96:97]
	v_add_f64 v[2:3], v[4:5], v[2:3]
	v_fma_f64 v[4:5], v[36:37], s[20:21], -v[98:99]
	v_fma_f64 v[98:99], v[36:37], s[20:21], v[98:99]
	v_add_f64 v[0:1], v[4:5], v[0:1]
	v_fma_f64 v[4:5], v[62:63], s[20:21], v[100:101]
	v_add_f64 v[2:3], v[4:5], v[2:3]
	v_fma_f64 v[4:5], v[64:65], s[16:17], -v[102:103]
	v_add_f64 v[0:1], v[4:5], v[0:1]
	v_fma_f64 v[4:5], v[44:45], s[16:17], v[104:105]
	v_add_f64 v[4:5], v[4:5], v[2:3]
	v_fma_f64 v[2:3], v[46:47], s[22:23], -v[106:107]
	v_add_f64 v[2:3], v[2:3], v[0:1]
	v_fma_f64 v[0:1], v[42:43], s[22:23], v[109:110]
	v_add_f64 v[0:1], v[0:1], v[4:5]
	v_mad_u64_u32 v[4:5], null, s2, v6, 0
	v_mad_u64_u32 v[5:6], null, s3, v6, v[5:6]
	v_add_nc_u32_e32 v6, 0x111, v108
	v_lshlrev_b64 v[4:5], 4, v[4:5]
	v_add_co_u32 v4, vcc_lo, v58, v4
	v_add_co_ci_u32_e32 v5, vcc_lo, v59, v5, vcc_lo
	global_store_dwordx4 v[4:5], v[0:3], off
	v_fma_f64 v[0:1], v[22:23], s[16:17], -v[111:112]
	v_fma_f64 v[2:3], v[28:29], s[14:15], -v[113:114]
	v_fma_f64 v[4:5], v[26:27], s[14:15], v[117:118]
	v_fma_f64 v[111:112], v[22:23], s[16:17], v[111:112]
	v_add_f64 v[0:1], v[54:55], v[0:1]
	v_add_f64 v[0:1], v[2:3], v[0:1]
	v_fma_f64 v[2:3], v[20:21], s[16:17], v[115:116]
	v_fma_f64 v[115:116], v[20:21], s[16:17], -v[115:116]
	v_add_f64 v[2:3], v[24:25], v[2:3]
	v_add_f64 v[2:3], v[4:5], v[2:3]
	v_fma_f64 v[4:5], v[34:35], s[6:7], -v[119:120]
	v_add_f64 v[0:1], v[4:5], v[0:1]
	v_fma_f64 v[4:5], v[38:39], s[6:7], v[121:122]
	v_add_f64 v[2:3], v[4:5], v[2:3]
	v_fma_f64 v[4:5], v[36:37], s[22:23], -v[123:124]
	v_add_f64 v[0:1], v[4:5], v[0:1]
	v_fma_f64 v[4:5], v[62:63], s[22:23], v[125:126]
	;; [unrolled: 4-line block ×4, first 2 shown]
	v_add_f64 v[0:1], v[0:1], v[4:5]
	v_mad_u64_u32 v[4:5], null, s2, v6, 0
	v_mad_u64_u32 v[5:6], null, s3, v6, v[5:6]
	v_fma_f64 v[6:7], v[28:29], s[16:17], -v[161:162]
	v_lshlrev_b64 v[4:5], 4, v[4:5]
	v_add_co_u32 v4, vcc_lo, v58, v4
	v_add_co_ci_u32_e32 v5, vcc_lo, v59, v5, vcc_lo
	global_store_dwordx4 v[4:5], v[0:3], off
	v_fma_f64 v[0:1], v[22:23], s[6:7], -v[135:136]
	v_fma_f64 v[2:3], v[28:29], s[20:21], -v[137:138]
	v_fma_f64 v[4:5], v[26:27], s[20:21], v[141:142]
	v_add_f64 v[0:1], v[54:55], v[0:1]
	v_add_f64 v[0:1], v[2:3], v[0:1]
	v_fma_f64 v[2:3], v[20:21], s[6:7], v[139:140]
	v_add_f64 v[2:3], v[24:25], v[2:3]
	v_add_f64 v[2:3], v[4:5], v[2:3]
	v_fma_f64 v[4:5], v[34:35], s[22:23], -v[143:144]
	v_add_f64 v[0:1], v[4:5], v[0:1]
	v_fma_f64 v[4:5], v[38:39], s[22:23], v[145:146]
	v_add_f64 v[2:3], v[4:5], v[2:3]
	v_fma_f64 v[4:5], v[36:37], s[16:17], -v[147:148]
	v_add_f64 v[0:1], v[4:5], v[0:1]
	v_fma_f64 v[4:5], v[62:63], s[16:17], v[149:150]
	;; [unrolled: 4-line block ×4, first 2 shown]
	v_add_f64 v[0:1], v[0:1], v[4:5]
	v_fma_f64 v[4:5], v[22:23], s[20:21], -v[159:160]
	v_add_f64 v[4:5], v[54:55], v[4:5]
	v_add_f64 v[4:5], v[6:7], v[4:5]
	v_fma_f64 v[6:7], v[20:21], s[20:21], v[163:164]
	v_add_f64 v[6:7], v[24:25], v[6:7]
	v_add_f64 v[6:7], v[167:168], v[6:7]
	v_mul_f64 v[167:168], v[40:41], s[8:9]
	v_mul_f64 v[40:41], v[40:41], s[28:29]
	v_fma_f64 v[169:170], v[34:35], s[0:1], -v[167:168]
	v_add_f64 v[4:5], v[169:170], v[4:5]
	v_mul_f64 v[169:170], v[16:17], s[8:9]
	v_mul_f64 v[16:17], v[16:17], s[28:29]
	v_fma_f64 v[171:172], v[38:39], s[0:1], v[169:170]
	v_add_f64 v[6:7], v[171:172], v[6:7]
	v_mul_f64 v[171:172], v[10:11], s[44:45]
	v_fma_f64 v[173:174], v[36:37], s[14:15], -v[171:172]
	v_add_f64 v[4:5], v[173:174], v[4:5]
	v_mul_f64 v[173:174], v[12:13], s[44:45]
	v_mul_f64 v[12:13], v[12:13], s[42:43]
	v_fma_f64 v[175:176], v[62:63], s[14:15], v[173:174]
	v_add_f64 v[6:7], v[175:176], v[6:7]
	v_mul_f64 v[175:176], v[14:15], s[34:35]
	v_mul_f64 v[14:15], v[14:15], s[18:19]
	v_fma_f64 v[177:178], v[64:65], s[22:23], -v[175:176]
	v_add_f64 v[4:5], v[177:178], v[4:5]
	v_mul_f64 v[177:178], v[8:9], s[34:35]
	v_fma_f64 v[179:180], v[44:45], s[22:23], v[177:178]
	v_add_f64 v[179:180], v[179:180], v[6:7]
	v_fma_f64 v[6:7], v[46:47], s[6:7], -v[181:182]
	v_add_f64 v[6:7], v[6:7], v[4:5]
	v_fma_f64 v[4:5], v[42:43], s[6:7], v[183:184]
	v_add_f64 v[4:5], v[4:5], v[179:180]
	v_fma_f64 v[179:180], v[22:23], s[14:15], -v[56:57]
	v_fma_f64 v[56:57], v[22:23], s[14:15], v[56:57]
	v_add_f64 v[179:180], v[54:55], v[179:180]
	v_add_f64 v[56:57], v[54:55], v[56:57]
	v_add_f64 v[179:180], v[185:186], v[179:180]
	v_fma_f64 v[185:186], v[20:21], s[14:15], v[60:61]
	v_add_f64 v[32:33], v[32:33], v[56:57]
	v_fma_f64 v[56:57], v[20:21], s[14:15], -v[60:61]
	v_fma_f64 v[60:61], v[64:65], s[16:17], v[102:103]
	v_fma_f64 v[102:103], v[34:35], s[6:7], v[119:120]
	v_add_f64 v[185:186], v[24:25], v[185:186]
	v_add_f64 v[56:57], v[24:25], v[56:57]
	;; [unrolled: 1-line block ×3, first 2 shown]
	v_fma_f64 v[187:188], v[34:35], s[20:21], -v[40:41]
	v_add_f64 v[18:19], v[18:19], v[56:57]
	v_fma_f64 v[40:41], v[34:35], s[20:21], v[40:41]
	v_fma_f64 v[56:57], v[64:65], s[0:1], v[127:128]
	v_add_f64 v[179:180], v[187:188], v[179:180]
	v_fma_f64 v[187:188], v[38:39], s[20:21], v[16:17]
	v_fma_f64 v[16:17], v[38:39], s[20:21], -v[16:17]
	v_add_f64 v[32:33], v[40:41], v[32:33]
	v_fma_f64 v[40:41], v[42:43], s[6:7], -v[183:184]
	v_add_f64 v[185:186], v[187:188], v[185:186]
	v_mul_f64 v[187:188], v[10:11], s[42:43]
	v_add_f64 v[16:17], v[16:17], v[18:19]
	v_fma_f64 v[10:11], v[36:37], s[0:1], -v[187:188]
	v_fma_f64 v[18:19], v[36:37], s[0:1], v[187:188]
	v_add_f64 v[10:11], v[10:11], v[179:180]
	v_fma_f64 v[179:180], v[62:63], s[0:1], v[12:13]
	v_fma_f64 v[12:13], v[62:63], s[0:1], -v[12:13]
	v_add_f64 v[18:19], v[18:19], v[32:33]
	v_fma_f64 v[32:33], v[26:27], s[16:17], -v[165:166]
	v_add_f64 v[179:180], v[179:180], v[185:186]
	;; [unrolled: 2-line block ×3, first 2 shown]
	v_fma_f64 v[14:15], v[64:65], s[6:7], v[14:15]
	v_add_f64 v[10:11], v[185:186], v[10:11]
	v_mul_f64 v[185:186], v[8:9], s[18:19]
	v_add_f64 v[14:15], v[14:15], v[18:19]
	v_fma_f64 v[18:19], v[42:43], s[16:17], -v[48:49]
	v_fma_f64 v[16:17], v[44:45], s[6:7], -v[185:186]
	v_fma_f64 v[8:9], v[44:45], s[6:7], v[185:186]
	v_add_f64 v[12:13], v[16:17], v[12:13]
	v_fma_f64 v[16:17], v[46:47], s[16:17], v[52:53]
	v_add_f64 v[8:9], v[8:9], v[179:180]
	v_fma_f64 v[179:180], v[46:47], s[16:17], -v[52:53]
	v_fma_f64 v[52:53], v[64:65], s[14:15], v[151:152]
	v_add_f64 v[12:13], v[18:19], v[12:13]
	v_add_f64 v[14:15], v[16:17], v[14:15]
	v_fma_f64 v[16:17], v[22:23], s[20:21], v[159:160]
	v_fma_f64 v[18:19], v[28:29], s[16:17], v[161:162]
	v_add_f64 v[10:11], v[179:180], v[10:11]
	v_fma_f64 v[179:180], v[42:43], s[16:17], v[48:49]
	v_fma_f64 v[48:49], v[46:47], s[22:23], v[106:107]
	;; [unrolled: 1-line block ×3, first 2 shown]
	v_fma_f64 v[113:114], v[26:27], s[14:15], -v[117:118]
	v_add_f64 v[16:17], v[54:55], v[16:17]
	v_add_f64 v[8:9], v[179:180], v[8:9]
	;; [unrolled: 1-line block ×3, first 2 shown]
	v_fma_f64 v[18:19], v[20:21], s[20:21], -v[163:164]
	v_add_f64 v[18:19], v[24:25], v[18:19]
	v_add_f64 v[18:19], v[32:33], v[18:19]
	v_fma_f64 v[32:33], v[34:35], s[0:1], v[167:168]
	v_add_f64 v[16:17], v[32:33], v[16:17]
	v_fma_f64 v[32:33], v[38:39], s[0:1], -v[169:170]
	v_add_f64 v[18:19], v[32:33], v[18:19]
	v_fma_f64 v[32:33], v[36:37], s[14:15], v[171:172]
	v_add_f64 v[16:17], v[32:33], v[16:17]
	v_fma_f64 v[32:33], v[62:63], s[14:15], -v[173:174]
	v_add_f64 v[18:19], v[32:33], v[18:19]
	v_fma_f64 v[32:33], v[64:65], s[22:23], v[175:176]
	v_fma_f64 v[64:65], v[64:65], s[20:21], v[78:79]
	;; [unrolled: 1-line block ×3, first 2 shown]
	v_add_f64 v[16:17], v[32:33], v[16:17]
	v_fma_f64 v[32:33], v[44:45], s[22:23], -v[177:178]
	v_add_f64 v[32:33], v[32:33], v[18:19]
	v_fma_f64 v[18:19], v[46:47], s[6:7], v[181:182]
	v_add_f64 v[18:19], v[18:19], v[16:17]
	v_add_f64 v[16:17], v[40:41], v[32:33]
	v_fma_f64 v[32:33], v[46:47], s[0:1], v[155:156]
	v_fma_f64 v[40:41], v[46:47], s[20:21], v[131:132]
	;; [unrolled: 1-line block ×11, first 2 shown]
	v_fma_f64 v[30:31], v[26:27], s[20:21], -v[141:142]
	v_fma_f64 v[26:27], v[26:27], s[0:1], -v[68:69]
	;; [unrolled: 1-line block ×4, first 2 shown]
	v_add_f64 v[66:67], v[54:55], v[111:112]
	v_add_f64 v[50:51], v[54:55], v[50:51]
	;; [unrolled: 1-line block ×9, first 2 shown]
	v_fma_f64 v[70:71], v[38:39], s[22:23], -v[145:146]
	v_add_f64 v[30:31], v[30:31], v[54:55]
	v_add_f64 v[54:55], v[113:114], v[68:69]
	;; [unrolled: 1-line block ×3, first 2 shown]
	v_fma_f64 v[86:87], v[38:39], s[6:7], -v[121:122]
	v_fma_f64 v[88:89], v[38:39], s[14:15], -v[96:97]
	;; [unrolled: 1-line block ×3, first 2 shown]
	v_add_f64 v[20:21], v[26:27], v[20:21]
	v_add_f64 v[22:23], v[28:29], v[22:23]
	;; [unrolled: 1-line block ×5, first 2 shown]
	v_fma_f64 v[66:67], v[62:63], s[16:17], -v[149:150]
	v_add_f64 v[26:27], v[70:71], v[30:31]
	v_fma_f64 v[70:71], v[62:63], s[20:21], -v[100:101]
	v_add_f64 v[30:31], v[86:87], v[54:55]
	v_add_f64 v[54:55], v[88:89], v[68:69]
	v_fma_f64 v[68:69], v[62:63], s[22:23], -v[125:126]
	v_fma_f64 v[62:63], v[62:63], s[6:7], -v[76:77]
	v_add_f64 v[20:21], v[38:39], v[20:21]
	v_add_f64 v[22:23], v[34:35], v[22:23]
	;; [unrolled: 1-line block ×5, first 2 shown]
	v_fma_f64 v[50:51], v[44:45], s[14:15], -v[153:154]
	v_add_f64 v[26:27], v[66:67], v[26:27]
	v_fma_f64 v[66:67], v[44:45], s[16:17], -v[104:105]
	v_add_f64 v[38:39], v[70:71], v[54:55]
	v_add_f64 v[30:31], v[68:69], v[30:31]
	v_fma_f64 v[54:55], v[44:45], s[0:1], -v[129:130]
	v_fma_f64 v[44:45], v[44:45], s[20:21], -v[80:81]
	v_add_f64 v[20:21], v[62:63], v[20:21]
	v_add_f64 v[22:23], v[36:37], v[22:23]
	v_add_nc_u32_e32 v62, 0x222, v108
	v_add_nc_u32_e32 v63, 0x27d, v108
	v_add_f64 v[24:25], v[52:53], v[24:25]
	v_add_f64 v[28:29], v[56:57], v[28:29]
	v_fma_f64 v[52:53], v[42:43], s[22:23], -v[109:110]
	v_add_f64 v[34:35], v[60:61], v[34:35]
	v_add_f64 v[26:27], v[50:51], v[26:27]
	v_fma_f64 v[50:51], v[42:43], s[20:21], -v[133:134]
	v_add_nc_u32_e32 v60, 0x16c, v108
	v_add_nc_u32_e32 v61, 0x1c7, v108
	v_add_f64 v[36:37], v[66:67], v[38:39]
	v_fma_f64 v[38:39], v[42:43], s[0:1], -v[157:158]
	v_add_f64 v[30:31], v[54:55], v[30:31]
	v_fma_f64 v[42:43], v[42:43], s[14:15], -v[84:85]
	v_add_f64 v[44:45], v[44:45], v[20:21]
	v_add_f64 v[54:55], v[64:65], v[22:23]
	v_mad_u64_u32 v[56:57], null, s2, v61, 0
	v_add_nc_u32_e32 v64, 0x2d8, v108
	v_add_f64 v[22:23], v[32:33], v[24:25]
	v_add_f64 v[20:21], v[38:39], v[26:27]
	v_mad_u64_u32 v[38:39], null, s2, v60, 0
	v_add_f64 v[26:27], v[40:41], v[28:29]
	v_mad_u64_u32 v[40:41], null, s2, v62, 0
	;; [unrolled: 2-line block ×3, first 2 shown]
	v_add_f64 v[32:33], v[42:43], v[44:45]
	v_add_f64 v[28:29], v[52:53], v[36:37]
	v_mad_u64_u32 v[36:37], null, s2, v64, 0
	v_mad_u64_u32 v[43:44], null, s3, v60, v[39:40]
	v_mov_b32_e32 v42, v57
	v_mov_b32_e32 v39, v51
	v_add_f64 v[30:31], v[48:49], v[34:35]
	v_add_f64 v[34:35], v[46:47], v[54:55]
	v_add_nc_u32_e32 v60, 0x3e9, v108
	v_mad_u64_u32 v[44:45], null, s3, v61, v[42:43]
	v_mad_u64_u32 v[45:46], null, s3, v63, v[39:40]
	;; [unrolled: 1-line block ×3, first 2 shown]
	v_add_nc_u32_e32 v47, 0x333, v108
	v_mad_u64_u32 v[41:42], null, s3, v62, v[41:42]
	v_mov_b32_e32 v39, v43
	v_mov_b32_e32 v57, v44
	v_mad_u64_u32 v[42:43], null, s2, v47, 0
	v_mov_b32_e32 v51, v45
	v_add_nc_u32_e32 v61, 0x444, v108
	v_lshlrev_b64 v[54:55], 4, v[56:57]
	v_lshlrev_b64 v[40:41], 4, v[40:41]
	;; [unrolled: 1-line block ×3, first 2 shown]
	v_mov_b32_e32 v37, v43
	v_mad_u64_u32 v[52:53], null, s2, v61, 0
	v_mad_u64_u32 v[43:44], null, s3, v47, v[37:38]
	v_add_nc_u32_e32 v44, 0x38e, v108
	v_mad_u64_u32 v[47:48], null, s2, v44, 0
	v_lshlrev_b64 v[42:43], 4, v[42:43]
	v_mov_b32_e32 v37, v48
	v_mad_u64_u32 v[44:45], null, s3, v44, v[37:38]
	v_mov_b32_e32 v37, v46
	v_mad_u64_u32 v[45:46], null, s2, v60, 0
	v_lshlrev_b64 v[38:39], 4, v[38:39]
	v_lshlrev_b64 v[36:37], 4, v[36:37]
	v_mov_b32_e32 v48, v44
	v_mov_b32_e32 v44, v46
	v_add_co_u32 v38, vcc_lo, v58, v38
	v_add_co_ci_u32_e32 v39, vcc_lo, v59, v39, vcc_lo
	v_mad_u64_u32 v[56:57], null, s3, v60, v[44:45]
	v_mov_b32_e32 v44, v53
	v_add_co_u32 v54, vcc_lo, v58, v54
	v_add_co_ci_u32_e32 v55, vcc_lo, v59, v55, vcc_lo
	v_add_co_u32 v40, vcc_lo, v58, v40
	v_mad_u64_u32 v[60:61], null, s3, v61, v[44:45]
	v_add_co_ci_u32_e32 v41, vcc_lo, v59, v41, vcc_lo
	v_add_co_u32 v49, vcc_lo, v58, v49
	v_add_co_ci_u32_e32 v50, vcc_lo, v59, v50, vcc_lo
	v_mov_b32_e32 v46, v56
	v_add_co_u32 v36, vcc_lo, v58, v36
	global_store_dwordx4 v[38:39], v[0:3], off
	global_store_dwordx4 v[54:55], v[4:7], off
	;; [unrolled: 1-line block ×4, first 2 shown]
	v_lshlrev_b64 v[0:1], 4, v[47:48]
	v_mov_b32_e32 v53, v60
	v_add_co_ci_u32_e32 v37, vcc_lo, v59, v37, vcc_lo
	v_add_co_u32 v2, vcc_lo, v58, v42
	v_lshlrev_b64 v[4:5], 4, v[45:46]
	v_add_co_ci_u32_e32 v3, vcc_lo, v59, v43, vcc_lo
	v_add_co_u32 v0, vcc_lo, v58, v0
	v_lshlrev_b64 v[6:7], 4, v[52:53]
	v_add_co_ci_u32_e32 v1, vcc_lo, v59, v1, vcc_lo
	v_add_co_u32 v4, vcc_lo, v58, v4
	v_add_co_ci_u32_e32 v5, vcc_lo, v59, v5, vcc_lo
	v_add_co_u32 v6, vcc_lo, v58, v6
	v_add_co_ci_u32_e32 v7, vcc_lo, v59, v7, vcc_lo
	global_store_dwordx4 v[36:37], v[16:19], off
	global_store_dwordx4 v[2:3], v[20:23], off
	global_store_dwordx4 v[0:1], v[24:27], off
	global_store_dwordx4 v[4:5], v[28:31], off
	global_store_dwordx4 v[6:7], v[32:35], off
.LBB0_21:
	s_endpgm
	.section	.rodata,"a",@progbits
	.p2align	6, 0x0
	.amdhsa_kernel fft_rtc_back_len1183_factors_7_13_13_wgs_182_tpt_91_halfLds_dp_op_CI_CI_sbrr_dirReg
		.amdhsa_group_segment_fixed_size 0
		.amdhsa_private_segment_fixed_size 0
		.amdhsa_kernarg_size 104
		.amdhsa_user_sgpr_count 6
		.amdhsa_user_sgpr_private_segment_buffer 1
		.amdhsa_user_sgpr_dispatch_ptr 0
		.amdhsa_user_sgpr_queue_ptr 0
		.amdhsa_user_sgpr_kernarg_segment_ptr 1
		.amdhsa_user_sgpr_dispatch_id 0
		.amdhsa_user_sgpr_flat_scratch_init 0
		.amdhsa_user_sgpr_private_segment_size 0
		.amdhsa_wavefront_size32 1
		.amdhsa_uses_dynamic_stack 0
		.amdhsa_system_sgpr_private_segment_wavefront_offset 0
		.amdhsa_system_sgpr_workgroup_id_x 1
		.amdhsa_system_sgpr_workgroup_id_y 0
		.amdhsa_system_sgpr_workgroup_id_z 0
		.amdhsa_system_sgpr_workgroup_info 0
		.amdhsa_system_vgpr_workitem_id 0
		.amdhsa_next_free_vgpr 189
		.amdhsa_next_free_sgpr 46
		.amdhsa_reserve_vcc 1
		.amdhsa_reserve_flat_scratch 0
		.amdhsa_float_round_mode_32 0
		.amdhsa_float_round_mode_16_64 0
		.amdhsa_float_denorm_mode_32 3
		.amdhsa_float_denorm_mode_16_64 3
		.amdhsa_dx10_clamp 1
		.amdhsa_ieee_mode 1
		.amdhsa_fp16_overflow 0
		.amdhsa_workgroup_processor_mode 1
		.amdhsa_memory_ordered 1
		.amdhsa_forward_progress 0
		.amdhsa_shared_vgpr_count 0
		.amdhsa_exception_fp_ieee_invalid_op 0
		.amdhsa_exception_fp_denorm_src 0
		.amdhsa_exception_fp_ieee_div_zero 0
		.amdhsa_exception_fp_ieee_overflow 0
		.amdhsa_exception_fp_ieee_underflow 0
		.amdhsa_exception_fp_ieee_inexact 0
		.amdhsa_exception_int_div_zero 0
	.end_amdhsa_kernel
	.text
.Lfunc_end0:
	.size	fft_rtc_back_len1183_factors_7_13_13_wgs_182_tpt_91_halfLds_dp_op_CI_CI_sbrr_dirReg, .Lfunc_end0-fft_rtc_back_len1183_factors_7_13_13_wgs_182_tpt_91_halfLds_dp_op_CI_CI_sbrr_dirReg
                                        ; -- End function
	.section	.AMDGPU.csdata,"",@progbits
; Kernel info:
; codeLenInByte = 13440
; NumSgprs: 48
; NumVgprs: 189
; ScratchSize: 0
; MemoryBound: 1
; FloatMode: 240
; IeeeMode: 1
; LDSByteSize: 0 bytes/workgroup (compile time only)
; SGPRBlocks: 5
; VGPRBlocks: 23
; NumSGPRsForWavesPerEU: 48
; NumVGPRsForWavesPerEU: 189
; Occupancy: 5
; WaveLimiterHint : 1
; COMPUTE_PGM_RSRC2:SCRATCH_EN: 0
; COMPUTE_PGM_RSRC2:USER_SGPR: 6
; COMPUTE_PGM_RSRC2:TRAP_HANDLER: 0
; COMPUTE_PGM_RSRC2:TGID_X_EN: 1
; COMPUTE_PGM_RSRC2:TGID_Y_EN: 0
; COMPUTE_PGM_RSRC2:TGID_Z_EN: 0
; COMPUTE_PGM_RSRC2:TIDIG_COMP_CNT: 0
	.text
	.p2alignl 6, 3214868480
	.fill 48, 4, 3214868480
	.type	__hip_cuid_50158870c1a927b8,@object ; @__hip_cuid_50158870c1a927b8
	.section	.bss,"aw",@nobits
	.globl	__hip_cuid_50158870c1a927b8
__hip_cuid_50158870c1a927b8:
	.byte	0                               ; 0x0
	.size	__hip_cuid_50158870c1a927b8, 1

	.ident	"AMD clang version 19.0.0git (https://github.com/RadeonOpenCompute/llvm-project roc-6.4.0 25133 c7fe45cf4b819c5991fe208aaa96edf142730f1d)"
	.section	".note.GNU-stack","",@progbits
	.addrsig
	.addrsig_sym __hip_cuid_50158870c1a927b8
	.amdgpu_metadata
---
amdhsa.kernels:
  - .args:
      - .actual_access:  read_only
        .address_space:  global
        .offset:         0
        .size:           8
        .value_kind:     global_buffer
      - .offset:         8
        .size:           8
        .value_kind:     by_value
      - .actual_access:  read_only
        .address_space:  global
        .offset:         16
        .size:           8
        .value_kind:     global_buffer
      - .actual_access:  read_only
        .address_space:  global
        .offset:         24
        .size:           8
        .value_kind:     global_buffer
      - .actual_access:  read_only
        .address_space:  global
        .offset:         32
        .size:           8
        .value_kind:     global_buffer
      - .offset:         40
        .size:           8
        .value_kind:     by_value
      - .actual_access:  read_only
        .address_space:  global
        .offset:         48
        .size:           8
        .value_kind:     global_buffer
      - .actual_access:  read_only
        .address_space:  global
        .offset:         56
        .size:           8
        .value_kind:     global_buffer
      - .offset:         64
        .size:           4
        .value_kind:     by_value
      - .actual_access:  read_only
        .address_space:  global
        .offset:         72
        .size:           8
        .value_kind:     global_buffer
      - .actual_access:  read_only
        .address_space:  global
        .offset:         80
        .size:           8
        .value_kind:     global_buffer
      - .actual_access:  read_only
        .address_space:  global
        .offset:         88
        .size:           8
        .value_kind:     global_buffer
      - .actual_access:  write_only
        .address_space:  global
        .offset:         96
        .size:           8
        .value_kind:     global_buffer
    .group_segment_fixed_size: 0
    .kernarg_segment_align: 8
    .kernarg_segment_size: 104
    .language:       OpenCL C
    .language_version:
      - 2
      - 0
    .max_flat_workgroup_size: 182
    .name:           fft_rtc_back_len1183_factors_7_13_13_wgs_182_tpt_91_halfLds_dp_op_CI_CI_sbrr_dirReg
    .private_segment_fixed_size: 0
    .sgpr_count:     48
    .sgpr_spill_count: 0
    .symbol:         fft_rtc_back_len1183_factors_7_13_13_wgs_182_tpt_91_halfLds_dp_op_CI_CI_sbrr_dirReg.kd
    .uniform_work_group_size: 1
    .uses_dynamic_stack: false
    .vgpr_count:     189
    .vgpr_spill_count: 0
    .wavefront_size: 32
    .workgroup_processor_mode: 1
amdhsa.target:   amdgcn-amd-amdhsa--gfx1030
amdhsa.version:
  - 1
  - 2
...

	.end_amdgpu_metadata
